;; amdgpu-corpus repo=ROCm/rocFFT kind=compiled arch=gfx950 opt=O3
	.text
	.amdgcn_target "amdgcn-amd-amdhsa--gfx950"
	.amdhsa_code_object_version 6
	.protected	bluestein_single_fwd_len3072_dim1_dp_op_CI_CI ; -- Begin function bluestein_single_fwd_len3072_dim1_dp_op_CI_CI
	.globl	bluestein_single_fwd_len3072_dim1_dp_op_CI_CI
	.p2align	8
	.type	bluestein_single_fwd_len3072_dim1_dp_op_CI_CI,@function
bluestein_single_fwd_len3072_dim1_dp_op_CI_CI: ; @bluestein_single_fwd_len3072_dim1_dp_op_CI_CI
; %bb.0:
	s_load_dwordx4 s[12:15], s[0:1], 0x28
	s_mov_b32 s3, 0
	v_mov_b32_e32 v23, v0
	s_waitcnt lgkmcnt(0)
	v_mov_b32_e32 v2, s12
	v_mov_b32_e32 v3, s13
	v_cmp_lt_u64_e32 vcc, s[2:3], v[2:3]
	s_and_saveexec_b64 s[4:5], vcc
	s_cbranch_execz .LBB0_2
; %bb.1:
	s_load_dwordx4 s[4:7], s[0:1], 0x0
	s_load_dwordx4 s[8:11], s[0:1], 0x18
	s_load_dwordx2 s[12:13], s[0:1], 0x38
	v_mov_b64_e32 v[2:3], s[2:3]
	v_mov_b32_e32 v4, s14
	v_mov_b32_e32 v5, s15
	s_waitcnt lgkmcnt(0)
	s_load_dwordx4 s[0:3], s[10:11], 0x0
	v_mov_b32_e32 v1, s13
	v_mov_b32_e32 v0, s12
	v_accvgpr_write_b32 a5, v1
	v_accvgpr_write_b32 a4, v0
	s_waitcnt lgkmcnt(0)
	v_mad_u64_u32 v[0:1], s[10:11], s2, v2, 0
	s_load_dwordx4 s[8:11], s[8:9], 0x0
	v_mov_b32_e32 v6, v1
	v_mad_u64_u32 v[6:7], s[2:3], s3, v2, v[6:7]
	v_mov_b32_e32 v1, v6
	s_waitcnt lgkmcnt(0)
	v_mad_u64_u32 v[6:7], s[2:3], s10, v2, 0
	v_mov_b32_e32 v8, v7
	v_mad_u64_u32 v[2:3], s[2:3], s11, v2, v[8:9]
	v_mov_b32_e32 v7, v2
	v_mad_u64_u32 v[2:3], s[10:11], s8, v23, 0
	v_mov_b32_e32 v8, v3
	v_mad_u64_u32 v[8:9], s[10:11], s9, v23, v[8:9]
	v_mov_b32_e32 v3, v8
	v_lshl_add_u64 v[4:5], v[6:7], 4, v[4:5]
	v_lshl_add_u64 v[10:11], v[2:3], 4, v[4:5]
	v_lshlrev_b32_e32 v254, 4, v23
	global_load_dwordx4 v[2:5], v[10:11], off
	global_load_dwordx4 v[12:15], v254, s[4:5]
	s_add_u32 s2, s4, 0xc000
	v_accvgpr_write_b32 a7, v1
	s_addc_u32 s3, s5, 0
	v_or_b32_e32 v18, 0x200, v23
	s_lshl_b64 s[10:11], s[8:9], 13
	v_accvgpr_write_b32 a6, v0
	v_lshl_add_u64 v[10:11], v[10:11], 0, s[10:11]
	v_lshlrev_b32_e32 v0, 4, v18
	v_or_b32_e32 v25, 0xa000, v254
	v_accvgpr_write_b32 a42, v0
	v_or_b32_e32 v27, 0x6000, v254
	v_or_b32_e32 v247, 0x8000, v254
	global_load_dwordx4 v[42:45], v247, s[4:5]
	v_or_b32_e32 v218, 0x100, v23
	v_lshlrev_b32_e32 v246, 4, v218
	s_mul_i32 s9, s9, 0xffff7000
	v_or_b32_e32 v33, 0x9000, v254
	v_or_b32_e32 v32, 0xb000, v254
	v_mul_lo_u16_e32 v19, 0xab, v23
	v_mov_b32_e32 v255, 0
	v_mul_u32_u24_e32 v24, 0x2aab, v18
	s_movk_i32 s20, 0x1000
	v_mov_b32_e32 v219, v255
	s_movk_i32 s14, 0x6000
	s_mov_b32 s13, 0x8000
	s_mov_b32 s15, 0x9000
	;; [unrolled: 1-line block ×3, first 2 shown]
	global_load_dwordx4 v[46:49], v25, s[4:5]
	global_load_dwordx4 v[38:41], v27, s[4:5]
	s_waitcnt vmcnt(3)
	v_mul_f64 v[6:7], v[4:5], v[14:15]
	v_fmac_f64_e32 v[6:7], v[2:3], v[12:13]
	v_mul_f64 v[2:3], v[2:3], v[14:15]
	v_accvgpr_write_b32 a31, v15
	v_fma_f64 v[8:9], v[4:5], v[12:13], -v[2:3]
	v_accvgpr_write_b32 a30, v14
	v_accvgpr_write_b32 a29, v13
	;; [unrolled: 1-line block ×3, first 2 shown]
	global_load_dwordx4 v[2:5], v[10:11], off
	global_load_dwordx4 v[12:15], v0, s[4:5]
	ds_write_b128 v254, v[6:9]
	v_lshl_add_u64 v[10:11], v[10:11], 0, s[10:11]
	v_or_b32_e32 v0, 0x4000, v254
	global_load_dwordx4 v[34:37], v0, s[4:5]
	v_accvgpr_write_b32 a43, v0
	v_mov_b32_e32 v0, 0xffff7000
	s_waitcnt vmcnt(1)
	v_mul_f64 v[6:7], v[4:5], v[14:15]
	v_fmac_f64_e32 v[6:7], v[2:3], v[12:13]
	v_mul_f64 v[2:3], v[2:3], v[14:15]
	v_fma_f64 v[8:9], v[4:5], v[12:13], -v[2:3]
	global_load_dwordx4 v[2:5], v[10:11], off
	ds_write_b128 v254, v[6:9] offset:8192
	v_lshl_add_u64 v[10:11], v[10:11], 0, s[10:11]
	v_accvgpr_write_b32 a35, v15
	v_accvgpr_write_b32 a34, v14
	;; [unrolled: 1-line block ×4, first 2 shown]
	global_load_dwordx4 v[12:15], v246, s[4:5]
	s_waitcnt vmcnt(1)
	v_mul_f64 v[6:7], v[4:5], v[36:37]
	v_fmac_f64_e32 v[6:7], v[2:3], v[34:35]
	v_mul_f64 v[2:3], v[2:3], v[36:37]
	v_fma_f64 v[8:9], v[4:5], v[34:35], -v[2:3]
	global_load_dwordx4 v[2:5], v[10:11], off
	ds_write_b128 v254, v[6:9] offset:16384
	v_lshl_add_u64 v[10:11], v[10:11], 0, s[10:11]
	s_waitcnt vmcnt(1)
	v_accvgpr_write_b32 a27, v15
	v_accvgpr_write_b32 a26, v14
	v_accvgpr_write_b32 a25, v13
	v_accvgpr_write_b32 a24, v12
	s_waitcnt vmcnt(0)
	v_mul_f64 v[6:7], v[4:5], v[40:41]
	v_fmac_f64_e32 v[6:7], v[2:3], v[38:39]
	v_mul_f64 v[2:3], v[2:3], v[40:41]
	v_fma_f64 v[8:9], v[4:5], v[38:39], -v[2:3]
	global_load_dwordx4 v[2:5], v[10:11], off
	ds_write_b128 v254, v[6:9] offset:24576
	v_lshl_add_u64 v[10:11], v[10:11], 0, s[10:11]
	s_waitcnt vmcnt(0)
	v_mul_f64 v[6:7], v[4:5], v[44:45]
	v_fmac_f64_e32 v[6:7], v[2:3], v[42:43]
	v_mul_f64 v[2:3], v[2:3], v[44:45]
	v_fma_f64 v[8:9], v[4:5], v[42:43], -v[2:3]
	global_load_dwordx4 v[2:5], v[10:11], off
	ds_write_b128 v254, v[6:9] offset:32768
	v_mad_u64_u32 v[10:11], s[16:17], s8, v0, v[10:11]
	s_sub_i32 s8, s9, s8
	v_add_u32_e32 v11, s8, v11
	v_or_b32_e32 v0, 0x3000, v254
	v_accvgpr_write_b32 a41, v0
	s_mov_b32 s9, 0xbfebb67a
	s_movk_i32 s17, 0x5000
	s_movk_i32 s16, 0x7000
	s_waitcnt vmcnt(0)
	v_mul_f64 v[6:7], v[4:5], v[48:49]
	v_fmac_f64_e32 v[6:7], v[2:3], v[46:47]
	v_mul_f64 v[2:3], v[2:3], v[48:49]
	v_fma_f64 v[8:9], v[4:5], v[46:47], -v[2:3]
	global_load_dwordx4 v[2:5], v[10:11], off
	ds_write_b128 v254, v[6:9] offset:40960
	v_lshl_add_u64 v[10:11], v[10:11], 0, s[10:11]
	s_waitcnt vmcnt(0)
	v_mul_f64 v[6:7], v[4:5], v[14:15]
	v_fmac_f64_e32 v[6:7], v[2:3], v[12:13]
	v_mul_f64 v[2:3], v[2:3], v[14:15]
	v_fma_f64 v[8:9], v[4:5], v[12:13], -v[2:3]
	global_load_dwordx4 v[2:5], v[10:11], off
	global_load_dwordx4 v[12:15], v0, s[4:5]
	ds_write_b128 v254, v[6:9] offset:4096
	v_lshl_add_u64 v[10:11], v[10:11], 0, s[10:11]
	v_or_b32_e32 v0, 0x5000, v254
	v_accvgpr_write_b32 a40, v0
	s_waitcnt vmcnt(0)
	v_mul_f64 v[6:7], v[4:5], v[14:15]
	v_fmac_f64_e32 v[6:7], v[2:3], v[12:13]
	v_mul_f64 v[2:3], v[2:3], v[14:15]
	v_accvgpr_write_b32 a23, v15
	v_fma_f64 v[8:9], v[4:5], v[12:13], -v[2:3]
	v_accvgpr_write_b32 a22, v14
	v_accvgpr_write_b32 a21, v13
	;; [unrolled: 1-line block ×3, first 2 shown]
	global_load_dwordx4 v[2:5], v[10:11], off
	global_load_dwordx4 v[12:15], v0, s[4:5]
	ds_write_b128 v254, v[6:9] offset:12288
	v_lshl_add_u64 v[10:11], v[10:11], 0, s[10:11]
	v_or_b32_e32 v0, 0x7000, v254
	v_accvgpr_write_b32 a39, v0
	s_waitcnt vmcnt(0)
	v_mul_f64 v[6:7], v[4:5], v[14:15]
	v_fmac_f64_e32 v[6:7], v[2:3], v[12:13]
	v_mul_f64 v[2:3], v[2:3], v[14:15]
	v_accvgpr_write_b32 a12, v12
	v_fma_f64 v[8:9], v[4:5], v[12:13], -v[2:3]
	v_accvgpr_write_b32 a13, v13
	v_accvgpr_write_b32 a14, v14
	;; [unrolled: 1-line block ×3, first 2 shown]
	global_load_dwordx4 v[2:5], v[10:11], off
	global_load_dwordx4 v[12:15], v0, s[4:5]
	ds_write_b128 v254, v[6:9] offset:20480
	v_lshl_add_u64 v[10:11], v[10:11], 0, s[10:11]
	v_mul_u32_u24_e32 v0, 6, v23
	v_lshlrev_b32_e32 v30, 4, v0
	v_mul_u32_u24_e32 v0, 6, v218
	v_lshlrev_b32_e32 v26, 4, v0
	v_lshrrev_b16_e32 v0, 10, v19
	v_mul_lo_u16_e32 v1, 6, v0
	v_sub_u16_e32 v1, v23, v1
	v_and_b32_e32 v1, 0xff, v1
	v_mul_u32_u24_e32 v0, 24, v0
	v_or_b32_e32 v0, v0, v1
	v_lshlrev_b32_e32 v0, 4, v0
	v_accvgpr_write_b32 a38, v0
	s_waitcnt vmcnt(0)
	v_mul_f64 v[6:7], v[4:5], v[14:15]
	v_fmac_f64_e32 v[6:7], v[2:3], v[12:13]
	v_mul_f64 v[2:3], v[2:3], v[14:15]
	v_accvgpr_write_b32 a8, v12
	v_fma_f64 v[8:9], v[4:5], v[12:13], -v[2:3]
	v_accvgpr_write_b32 a9, v13
	v_accvgpr_write_b32 a10, v14
	;; [unrolled: 1-line block ×3, first 2 shown]
	global_load_dwordx4 v[2:5], v[10:11], off
	global_load_dwordx4 v[12:15], v33, s[4:5]
	ds_write_b128 v254, v[6:9] offset:28672
	s_waitcnt vmcnt(0)
	v_mul_f64 v[6:7], v[4:5], v[14:15]
	v_fmac_f64_e32 v[6:7], v[2:3], v[12:13]
	v_mul_f64 v[2:3], v[2:3], v[14:15]
	v_fma_f64 v[8:9], v[4:5], v[12:13], -v[2:3]
	v_accvgpr_write_b32 a0, v12
	v_lshl_add_u64 v[2:3], v[10:11], 0, s[10:11]
	v_accvgpr_write_b32 a1, v13
	v_accvgpr_write_b32 a2, v14
	;; [unrolled: 1-line block ×3, first 2 shown]
	global_load_dwordx4 v[2:5], v[2:3], off
	ds_write_b128 v254, v[6:9] offset:36864
	global_load_dwordx4 v[10:13], v32, s[4:5]
	s_mov_b32 s4, 0xe8584caa
	s_mov_b32 s5, 0x3febb67a
	;; [unrolled: 1-line block ×3, first 2 shown]
	s_waitcnt vmcnt(0)
	v_accvgpr_write_b32 a19, v13
	v_mul_f64 v[6:7], v[4:5], v[12:13]
	v_fmac_f64_e32 v[6:7], v[2:3], v[10:11]
	v_mul_f64 v[2:3], v[2:3], v[12:13]
	v_fma_f64 v[8:9], v[4:5], v[10:11], -v[2:3]
	v_accvgpr_write_b32 a18, v12
	v_accvgpr_write_b32 a17, v11
	;; [unrolled: 1-line block ×3, first 2 shown]
	ds_write_b128 v254, v[6:9] offset:45056
	s_waitcnt lgkmcnt(0)
	s_barrier
	ds_read_b128 v[2:5], v254
	ds_read_b128 v[6:9], v254 offset:8192
	ds_read_b128 v[10:13], v254 offset:16384
	;; [unrolled: 1-line block ×11, first 2 shown]
	s_waitcnt lgkmcnt(7)
	v_add_f64 v[82:83], v[10:11], v[50:51]
	v_add_f64 v[20:21], v[2:3], v[10:11]
	v_fmac_f64_e32 v[2:3], -0.5, v[82:83]
	v_add_f64 v[82:83], v[12:13], -v[52:53]
	v_fma_f64 v[84:85], s[4:5], v[82:83], v[2:3]
	v_fmac_f64_e32 v[2:3], s[8:9], v[82:83]
	v_add_f64 v[82:83], v[4:5], v[12:13]
	v_add_f64 v[12:13], v[12:13], v[52:53]
	v_fmac_f64_e32 v[4:5], -0.5, v[12:13]
	v_add_f64 v[10:11], v[10:11], -v[50:51]
	v_fma_f64 v[88:89], s[8:9], v[10:11], v[4:5]
	v_fmac_f64_e32 v[4:5], s[4:5], v[10:11]
	v_add_f64 v[10:11], v[6:7], v[14:15]
	v_add_f64 v[86:87], v[82:83], v[52:53]
	s_waitcnt lgkmcnt(6)
	v_add_f64 v[82:83], v[10:11], v[54:55]
	v_add_f64 v[10:11], v[14:15], v[54:55]
	v_fmac_f64_e32 v[6:7], -0.5, v[10:11]
	v_add_f64 v[10:11], v[16:17], -v[56:57]
	v_fma_f64 v[52:53], s[4:5], v[10:11], v[6:7]
	v_fmac_f64_e32 v[6:7], s[8:9], v[10:11]
	v_add_f64 v[10:11], v[8:9], v[16:17]
	v_add_f64 v[90:91], v[10:11], v[56:57]
	;; [unrolled: 1-line block ×3, first 2 shown]
	v_fmac_f64_e32 v[8:9], -0.5, v[10:11]
	v_add_f64 v[10:11], v[14:15], -v[54:55]
	v_fma_f64 v[14:15], s[8:9], v[10:11], v[8:9]
	v_fmac_f64_e32 v[8:9], s[4:5], v[10:11]
	v_mul_f64 v[16:17], v[14:15], s[4:5]
	v_mul_f64 v[94:95], v[52:53], s[8:9]
	v_add_f64 v[20:21], v[20:21], v[50:51]
	v_fmac_f64_e32 v[16:17], 0.5, v[52:53]
	v_fmac_f64_e32 v[94:95], 0.5, v[14:15]
	v_mul_f64 v[14:15], v[8:9], -0.5
	v_add_f64 v[10:11], v[20:21], v[82:83]
	v_add_f64 v[50:51], v[84:85], v[16:17]
	v_mul_f64 v[92:93], v[6:7], -0.5
	v_fmac_f64_e32 v[14:15], s[8:9], v[6:7]
	v_add_f64 v[6:7], v[20:21], -v[82:83]
	v_add_f64 v[82:83], v[84:85], -v[16:17]
	s_waitcnt lgkmcnt(1)
	v_add_f64 v[16:17], v[66:67], v[74:75]
	v_add_f64 v[56:57], v[4:5], v[14:15]
	v_add_f64 v[4:5], v[4:5], -v[14:15]
	v_add_f64 v[14:15], v[58:59], v[66:67]
	v_fmac_f64_e32 v[58:59], -0.5, v[16:17]
	v_add_f64 v[16:17], v[68:69], -v[76:77]
	v_fma_f64 v[20:21], s[4:5], v[16:17], v[58:59]
	v_fmac_f64_e32 v[58:59], s[8:9], v[16:17]
	v_add_f64 v[16:17], v[60:61], v[68:69]
	v_add_f64 v[68:69], v[68:69], v[76:77]
	v_fmac_f64_e32 v[60:61], -0.5, v[68:69]
	v_add_f64 v[66:67], v[66:67], -v[74:75]
	v_fmac_f64_e32 v[92:93], s[4:5], v[8:9]
	v_add_f64 v[12:13], v[86:87], v[90:91]
	v_add_f64 v[8:9], v[86:87], -v[90:91]
	v_fma_f64 v[86:87], s[8:9], v[66:67], v[60:61]
	v_fmac_f64_e32 v[60:61], s[4:5], v[66:67]
	v_add_f64 v[66:67], v[62:63], v[70:71]
	v_add_f64 v[52:53], v[88:89], v[94:95]
	v_add_f64 v[84:85], v[88:89], -v[94:95]
	s_waitcnt lgkmcnt(0)
	v_add_f64 v[88:89], v[66:67], v[78:79]
	v_add_f64 v[66:67], v[70:71], v[78:79]
	v_fmac_f64_e32 v[62:63], -0.5, v[66:67]
	v_add_f64 v[66:67], v[72:73], -v[80:81]
	v_add_f64 v[16:17], v[16:17], v[76:77]
	v_fma_f64 v[76:77], s[4:5], v[66:67], v[62:63]
	v_fmac_f64_e32 v[62:63], s[8:9], v[66:67]
	v_add_f64 v[66:67], v[64:65], v[72:73]
	v_add_f64 v[90:91], v[66:67], v[80:81]
	;; [unrolled: 1-line block ×3, first 2 shown]
	v_fmac_f64_e32 v[64:65], -0.5, v[66:67]
	v_add_f64 v[66:67], v[70:71], -v[78:79]
	v_fma_f64 v[72:73], s[8:9], v[66:67], v[64:65]
	v_fmac_f64_e32 v[64:65], s[4:5], v[66:67]
	v_add_f64 v[54:55], v[2:3], v[92:93]
	v_add_f64 v[2:3], v[2:3], -v[92:93]
	v_mul_f64 v[78:79], v[72:73], s[4:5]
	v_mul_f64 v[80:81], v[62:63], -0.5
	v_mul_f64 v[92:93], v[76:77], s[8:9]
	v_mul_f64 v[94:95], v[64:65], -0.5
	v_add_f64 v[14:15], v[14:15], v[74:75]
	v_fmac_f64_e32 v[78:79], 0.5, v[76:77]
	v_fmac_f64_e32 v[80:81], s[4:5], v[64:65]
	v_fmac_f64_e32 v[92:93], 0.5, v[72:73]
	v_fmac_f64_e32 v[94:95], s[8:9], v[62:63]
	v_add_f64 v[66:67], v[14:15], v[88:89]
	v_add_f64 v[70:71], v[20:21], v[78:79]
	;; [unrolled: 1-line block ×6, first 2 shown]
	v_add_f64 v[62:63], v[14:15], -v[88:89]
	v_add_f64 v[58:59], v[58:59], -v[80:81]
	;; [unrolled: 1-line block ×4, first 2 shown]
	v_mad_u64_u32 v[14:15], s[10:11], v1, 48, s[6:7]
	v_add_f64 v[78:79], v[20:21], -v[78:79]
	v_add_f64 v[80:81], v[86:87], -v[92:93]
	s_barrier
	ds_write_b128 v30, v[10:13]
	ds_write_b128 v30, v[50:53] offset:16
	ds_write_b128 v30, v[54:57] offset:32
	;; [unrolled: 1-line block ×5, first 2 shown]
	ds_write_b128 v26, v[66:69]
	ds_write_b128 v26, v[70:73] offset:16
	ds_write_b128 v26, v[74:77] offset:32
	;; [unrolled: 1-line block ×5, first 2 shown]
	s_waitcnt lgkmcnt(0)
	s_barrier
	ds_read_b128 v[94:97], v254
	ds_read_b128 v[62:65], v254 offset:12288
	ds_read_b128 v[66:69], v254 offset:24576
	;; [unrolled: 1-line block ×11, first 2 shown]
	global_load_dwordx4 v[50:53], v[14:15], off offset:32
	global_load_dwordx4 v[54:57], v[14:15], off offset:16
	global_load_dwordx4 v[58:61], v[14:15], off
	v_mul_u32_u24_e32 v16, 0x2aab, v218
	v_mov_b32_e32 v17, 6
	s_waitcnt vmcnt(2) lgkmcnt(8)
	v_mul_f64 v[120:121], v[70:71], v[52:53]
	s_waitcnt vmcnt(1)
	v_mul_f64 v[116:117], v[66:67], v[56:57]
	s_waitcnt vmcnt(0)
	v_mul_f64 v[14:15], v[64:65], v[60:61]
	v_fma_f64 v[110:111], v[62:63], v[58:59], -v[14:15]
	v_mul_f64 v[14:15], v[68:69], v[56:57]
	v_fma_f64 v[114:115], v[66:67], v[54:55], -v[14:15]
	v_mul_f64 v[14:15], v[72:73], v[52:53]
	v_fma_f64 v[118:119], v[70:71], v[50:51], -v[14:15]
	v_mul_lo_u16_sdwa v14, v16, v17 dst_sel:DWORD dst_unused:UNUSED_PAD src0_sel:WORD_1 src1_sel:DWORD
	v_sub_u16_e32 v22, v218, v14
	v_mul_lo_u16_e32 v14, 48, v22
	v_mov_b32_e32 v15, v255
	v_mul_f64 v[112:113], v[62:63], v[60:61]
	v_lshl_add_u64 v[14:15], s[6:7], 0, v[14:15]
	v_fmac_f64_e32 v[112:113], v[64:65], v[58:59]
	v_fmac_f64_e32 v[116:117], v[68:69], v[54:55]
	;; [unrolled: 1-line block ×3, first 2 shown]
	global_load_dwordx4 v[62:65], v[14:15], off offset:32
	global_load_dwordx4 v[66:69], v[14:15], off offset:16
	global_load_dwordx4 v[70:73], v[14:15], off
	s_waitcnt vmcnt(0) lgkmcnt(6)
	v_mul_f64 v[14:15], v[12:13], v[72:73]
	v_fma_f64 v[14:15], v[10:11], v[70:71], -v[14:15]
	v_mul_f64 v[10:11], v[10:11], v[72:73]
	v_fmac_f64_e32 v[10:11], v[12:13], v[70:71]
	s_waitcnt lgkmcnt(5)
	v_mul_f64 v[12:13], v[8:9], v[68:69]
	v_fma_f64 v[12:13], v[6:7], v[66:67], -v[12:13]
	v_mul_f64 v[6:7], v[6:7], v[68:69]
	v_fmac_f64_e32 v[6:7], v[8:9], v[66:67]
	s_waitcnt lgkmcnt(4)
	v_mul_f64 v[8:9], v[4:5], v[64:65]
	v_fma_f64 v[8:9], v[2:3], v[62:63], -v[8:9]
	v_mul_f64 v[2:3], v[2:3], v[64:65]
	v_fmac_f64_e32 v[2:3], v[4:5], v[62:63]
	v_mul_lo_u16_sdwa v4, v24, v17 dst_sel:DWORD dst_unused:UNUSED_PAD src0_sel:WORD_1 src1_sel:DWORD
	v_sub_u16_e32 v17, v18, v4
	v_mul_lo_u16_e32 v4, 48, v17
	v_mov_b32_e32 v5, v255
	v_lshl_add_u64 v[4:5], s[6:7], 0, v[4:5]
	global_load_dwordx4 v[74:77], v[4:5], off offset:32
	global_load_dwordx4 v[78:81], v[4:5], off offset:16
	global_load_dwordx4 v[90:93], v[4:5], off
	s_waitcnt lgkmcnt(0)
	s_barrier
	s_waitcnt vmcnt(2)
	v_mul_f64 v[130:131], v[98:99], v[76:77]
	s_waitcnt vmcnt(1)
	v_mul_f64 v[126:127], v[102:103], v[80:81]
	;; [unrolled: 2-line block ×3, first 2 shown]
	v_fma_f64 v[20:21], v[106:107], v[90:91], -v[4:5]
	v_mul_f64 v[122:123], v[106:107], v[92:93]
	v_mul_f64 v[4:5], v[104:105], v[80:81]
	v_fmac_f64_e32 v[122:123], v[108:109], v[90:91]
	v_fma_f64 v[124:125], v[102:103], v[78:79], -v[4:5]
	v_mul_f64 v[4:5], v[100:101], v[76:77]
	v_add_f64 v[108:109], v[96:97], -v[116:117]
	v_add_f64 v[102:103], v[112:113], -v[120:121]
	v_fmac_f64_e32 v[126:127], v[104:105], v[78:79]
	v_fma_f64 v[128:129], v[98:99], v[74:75], -v[4:5]
	v_fmac_f64_e32 v[130:131], v[100:101], v[74:75]
	v_add_f64 v[4:5], v[94:95], -v[114:115]
	v_fma_f64 v[100:101], v[96:97], 2.0, -v[108:109]
	v_add_f64 v[104:105], v[110:111], -v[118:119]
	v_fma_f64 v[96:97], v[112:113], 2.0, -v[102:103]
	;; [unrolled: 2-line block ×3, first 2 shown]
	v_fma_f64 v[94:95], v[110:111], 2.0, -v[104:105]
	v_add_f64 v[102:103], v[4:5], -v[102:103]
	v_add_f64 v[110:111], v[86:87], -v[12:13]
	v_fma_f64 v[12:13], v[88:89], 2.0, -v[112:113]
	v_add_f64 v[88:89], v[10:11], -v[2:3]
	v_add_f64 v[94:95], v[98:99], -v[94:95]
	;; [unrolled: 1-line block ×3, first 2 shown]
	v_fma_f64 v[106:107], v[4:5], 2.0, -v[102:103]
	v_fma_f64 v[4:5], v[10:11], 2.0, -v[88:89]
	;; [unrolled: 1-line block ×4, first 2 shown]
	v_add_f64 v[104:105], v[108:109], v[104:105]
	v_fma_f64 v[6:7], v[86:87], 2.0, -v[110:111]
	v_add_f64 v[86:87], v[14:15], -v[8:9]
	v_add_f64 v[4:5], v[12:13], -v[4:5]
	v_fma_f64 v[108:109], v[108:109], 2.0, -v[104:105]
	v_fma_f64 v[2:3], v[14:15], 2.0, -v[86:87]
	;; [unrolled: 1-line block ×3, first 2 shown]
	v_add_f64 v[12:13], v[112:113], v[86:87]
	v_add_f64 v[14:15], v[82:83], -v[124:125]
	v_add_f64 v[120:121], v[84:85], -v[126:127]
	;; [unrolled: 1-line block ×3, first 2 shown]
	ds_write_b128 v0, v[98:101]
	ds_write_b128 v0, v[106:109] offset:96
	ds_write_b128 v0, v[94:97] offset:192
	;; [unrolled: 1-line block ×3, first 2 shown]
	v_mov_b32_e32 v0, 24
	v_add_f64 v[10:11], v[110:111], -v[88:89]
	v_fma_f64 v[88:89], v[112:113], 2.0, -v[12:13]
	v_fma_f64 v[112:113], v[84:85], 2.0, -v[120:121]
	;; [unrolled: 1-line block ×3, first 2 shown]
	v_add_f64 v[114:115], v[14:15], -v[114:115]
	v_mul_lo_u16_sdwa v1, v16, v0 dst_sel:DWORD dst_unused:UNUSED_PAD src0_sel:WORD_1 src1_sel:DWORD
	v_add_f64 v[2:3], v[6:7], -v[2:3]
	v_fma_f64 v[86:87], v[110:111], 2.0, -v[10:11]
	v_fma_f64 v[110:111], v[82:83], 2.0, -v[14:15]
	;; [unrolled: 1-line block ×3, first 2 shown]
	v_or_b32_e32 v1, v1, v22
	v_mov_b32_e32 v14, 4
	v_fma_f64 v[6:7], v[6:7], 2.0, -v[2:3]
	v_add_f64 v[116:117], v[20:21], -v[128:129]
	v_lshlrev_b32_sdwa v1, v14, v1 dst_sel:DWORD dst_unused:UNUSED_PAD src0_sel:DWORD src1_sel:WORD_0
	v_fma_f64 v[20:21], v[20:21], 2.0, -v[116:117]
	ds_write_b128 v1, v[6:9]
	ds_write_b128 v1, v[86:89] offset:96
	ds_write_b128 v1, v[2:5] offset:192
	;; [unrolled: 1-line block ×3, first 2 shown]
	v_accvgpr_write_b32 a37, v1
	v_mul_lo_u16_sdwa v1, v24, v0 dst_sel:DWORD dst_unused:UNUSED_PAD src0_sel:WORD_1 src1_sel:DWORD
	v_add_f64 v[82:83], v[110:111], -v[20:21]
	v_add_f64 v[84:85], v[112:113], -v[84:85]
	v_or_b32_e32 v1, v1, v17
	v_fma_f64 v[110:111], v[110:111], 2.0, -v[82:83]
	v_fma_f64 v[112:113], v[112:113], 2.0, -v[84:85]
	v_add_f64 v[116:117], v[120:121], v[116:117]
	v_lshlrev_b32_sdwa v1, v14, v1 dst_sel:DWORD dst_unused:UNUSED_PAD src0_sel:DWORD src1_sel:WORD_0
	v_fma_f64 v[120:121], v[120:121], 2.0, -v[116:117]
	ds_write_b128 v1, v[110:113]
	ds_write_b128 v1, v[118:121] offset:96
	ds_write_b128 v1, v[82:85] offset:192
	;; [unrolled: 1-line block ×3, first 2 shown]
	v_accvgpr_write_b32 a36, v1
	v_lshrrev_b16_e32 v1, 12, v19
	v_mul_lo_u16_e32 v15, 24, v1
	v_sub_u16_e32 v15, v23, v15
	v_and_b32_e32 v15, 0xff, v15
	v_mad_u64_u32 v[20:21], s[10:11], v15, 48, s[6:7]
	s_waitcnt lgkmcnt(0)
	s_barrier
	ds_read_b128 v[130:133], v254
	ds_read_b128 v[98:101], v254 offset:12288
	ds_read_b128 v[102:105], v254 offset:24576
	;; [unrolled: 1-line block ×11, first 2 shown]
	global_load_dwordx4 v[82:85], v[20:21], off offset:320
	global_load_dwordx4 v[86:89], v[20:21], off offset:304
	;; [unrolled: 1-line block ×3, first 2 shown]
	v_mul_u32_u24_e32 v16, 0xaab, v218
	v_mul_lo_u16_sdwa v17, v16, v0 dst_sel:DWORD dst_unused:UNUSED_PAD src0_sel:WORD_1 src1_sel:DWORD
	v_sub_u16_e32 v17, v218, v17
	v_mul_u32_u24_e32 v22, 0xaab, v18
	v_mul_lo_u16_sdwa v0, v22, v0 dst_sel:DWORD dst_unused:UNUSED_PAD src0_sel:WORD_1 src1_sel:DWORD
	v_sub_u16_e32 v0, v18, v0
	v_mul_u32_u24_e32 v1, 0x60, v1
	v_or_b32_e32 v1, v1, v15
	s_movk_i32 s10, 0x60
	v_lshlrev_b32_e32 v1, 4, v1
	v_accvgpr_write_b32 a44, v1
	v_mul_u32_u24_e32 v15, 0x2ab, v218
	s_waitcnt vmcnt(2) lgkmcnt(8)
	v_mul_f64 v[156:157], v[106:107], v[84:85]
	s_waitcnt vmcnt(1)
	v_mul_f64 v[152:153], v[102:103], v[88:89]
	s_waitcnt vmcnt(0)
	v_mul_f64 v[20:21], v[100:101], v[96:97]
	v_fma_f64 v[146:147], v[98:99], v[94:95], -v[20:21]
	v_mul_f64 v[20:21], v[104:105], v[88:89]
	v_fma_f64 v[150:151], v[102:103], v[86:87], -v[20:21]
	;; [unrolled: 2-line block ×3, first 2 shown]
	v_mul_lo_u16_e32 v20, 48, v17
	v_mov_b32_e32 v21, v255
	v_mul_f64 v[148:149], v[98:99], v[96:97]
	v_lshl_add_u64 v[20:21], s[6:7], 0, v[20:21]
	v_fmac_f64_e32 v[148:149], v[100:101], v[94:95]
	v_fmac_f64_e32 v[152:153], v[104:105], v[86:87]
	;; [unrolled: 1-line block ×3, first 2 shown]
	global_load_dwordx4 v[98:101], v[20:21], off offset:320
	global_load_dwordx4 v[102:105], v[20:21], off offset:304
	;; [unrolled: 1-line block ×3, first 2 shown]
	s_waitcnt vmcnt(2) lgkmcnt(4)
	v_mul_f64 v[166:167], v[2:3], v[100:101]
	s_waitcnt vmcnt(1)
	v_mul_f64 v[162:163], v[6:7], v[104:105]
	s_waitcnt vmcnt(0)
	v_mul_f64 v[20:21], v[12:13], v[108:109]
	v_fma_f64 v[20:21], v[10:11], v[106:107], -v[20:21]
	v_mul_f64 v[158:159], v[10:11], v[108:109]
	v_mul_f64 v[10:11], v[8:9], v[104:105]
	v_fma_f64 v[160:161], v[6:7], v[102:103], -v[10:11]
	v_mul_f64 v[6:7], v[4:5], v[100:101]
	v_fma_f64 v[164:165], v[2:3], v[98:99], -v[6:7]
	v_mul_lo_u16_e32 v2, 48, v0
	v_mov_b32_e32 v3, v255
	v_lshl_add_u64 v[2:3], s[6:7], 0, v[2:3]
	global_load_dwordx4 v[110:113], v[2:3], off offset:320
	global_load_dwordx4 v[114:117], v[2:3], off offset:304
	;; [unrolled: 1-line block ×3, first 2 shown]
	v_fmac_f64_e32 v[158:159], v[12:13], v[106:107]
	v_add_f64 v[12:13], v[146:147], -v[154:155]
	v_add_f64 v[10:11], v[148:149], -v[156:157]
	v_fmac_f64_e32 v[162:163], v[8:9], v[102:103]
	v_fmac_f64_e32 v[166:167], v[4:5], v[98:99]
	v_fma_f64 v[4:5], v[148:149], 2.0, -v[10:11]
	s_waitcnt lgkmcnt(0)
	s_barrier
	s_waitcnt vmcnt(2)
	v_mul_f64 v[178:179], v[134:135], v[112:113]
	v_fmac_f64_e32 v[178:179], v[136:137], v[110:111]
	s_waitcnt vmcnt(0)
	v_mul_f64 v[2:3], v[144:145], v[120:121]
	v_fma_f64 v[168:169], v[142:143], v[118:119], -v[2:3]
	v_mul_f64 v[2:3], v[140:141], v[116:117]
	v_fma_f64 v[172:173], v[138:139], v[114:115], -v[2:3]
	;; [unrolled: 2-line block ×3, first 2 shown]
	v_add_f64 v[134:135], v[130:131], -v[150:151]
	v_add_f64 v[136:137], v[132:133], -v[152:153]
	v_fma_f64 v[6:7], v[130:131], 2.0, -v[134:135]
	v_fma_f64 v[8:9], v[132:133], 2.0, -v[136:137]
	;; [unrolled: 1-line block ×3, first 2 shown]
	v_mul_f64 v[170:171], v[142:143], v[120:121]
	v_mul_f64 v[174:175], v[138:139], v[116:117]
	v_add_f64 v[2:3], v[6:7], -v[2:3]
	v_add_f64 v[4:5], v[8:9], -v[4:5]
	v_fmac_f64_e32 v[170:171], v[144:145], v[118:119]
	v_fmac_f64_e32 v[174:175], v[140:141], v[114:115]
	v_fma_f64 v[6:7], v[6:7], 2.0, -v[2:3]
	v_fma_f64 v[8:9], v[8:9], 2.0, -v[4:5]
	v_add_f64 v[10:11], v[134:135], -v[10:11]
	v_add_f64 v[12:13], v[136:137], v[12:13]
	v_add_f64 v[142:143], v[126:127], -v[160:161]
	v_add_f64 v[144:145], v[128:129], -v[162:163]
	;; [unrolled: 1-line block ×4, first 2 shown]
	v_fma_f64 v[130:131], v[134:135], 2.0, -v[10:11]
	v_fma_f64 v[132:133], v[136:137], 2.0, -v[12:13]
	;; [unrolled: 1-line block ×6, first 2 shown]
	ds_write_b128 v1, v[6:9]
	ds_write_b128 v1, v[130:133] offset:384
	ds_write_b128 v1, v[2:5] offset:768
	;; [unrolled: 1-line block ×3, first 2 shown]
	v_mul_lo_u16_sdwa v1, v16, s10 dst_sel:DWORD dst_unused:UNUSED_PAD src0_sel:WORD_1 src1_sel:DWORD
	v_add_f64 v[126:127], v[134:135], -v[20:21]
	v_add_f64 v[128:129], v[136:137], -v[128:129]
	v_or_b32_e32 v1, v1, v17
	v_fma_f64 v[134:135], v[134:135], 2.0, -v[126:127]
	v_fma_f64 v[136:137], v[136:137], 2.0, -v[128:129]
	v_add_f64 v[138:139], v[142:143], -v[138:139]
	v_add_f64 v[140:141], v[144:145], v[140:141]
	v_add_f64 v[20:21], v[122:123], -v[172:173]
	v_add_f64 v[156:157], v[124:125], -v[174:175]
	;; [unrolled: 1-line block ×4, first 2 shown]
	v_lshlrev_b32_sdwa v1, v14, v1 dst_sel:DWORD dst_unused:UNUSED_PAD src0_sel:DWORD src1_sel:WORD_0
	v_fma_f64 v[142:143], v[142:143], 2.0, -v[138:139]
	v_fma_f64 v[144:145], v[144:145], 2.0, -v[140:141]
	;; [unrolled: 1-line block ×6, first 2 shown]
	ds_write_b128 v1, v[134:137]
	ds_write_b128 v1, v[142:145] offset:384
	ds_write_b128 v1, v[126:129] offset:768
	ds_write_b128 v1, v[138:141] offset:1152
	v_accvgpr_write_b32 a45, v1
	v_mul_lo_u16_sdwa v1, v22, s10 dst_sel:DWORD dst_unused:UNUSED_PAD src0_sel:WORD_1 src1_sel:DWORD
	v_add_f64 v[122:123], v[146:147], -v[122:123]
	v_add_f64 v[124:125], v[148:149], -v[124:125]
	v_or_b32_e32 v0, v1, v0
	v_fma_f64 v[146:147], v[146:147], 2.0, -v[122:123]
	v_fma_f64 v[148:149], v[148:149], 2.0, -v[124:125]
	v_add_f64 v[150:151], v[20:21], -v[150:151]
	v_add_f64 v[152:153], v[156:157], v[152:153]
	v_lshlrev_b32_sdwa v0, v14, v0 dst_sel:DWORD dst_unused:UNUSED_PAD src0_sel:DWORD src1_sel:WORD_0
	v_fma_f64 v[154:155], v[20:21], 2.0, -v[150:151]
	v_fma_f64 v[156:157], v[156:157], 2.0, -v[152:153]
	ds_write_b128 v0, v[146:149]
	ds_write_b128 v0, v[154:157] offset:384
	ds_write_b128 v0, v[122:125] offset:768
	;; [unrolled: 1-line block ×3, first 2 shown]
	v_accvgpr_write_b32 a46, v0
	v_lshrrev_b16_e32 v0, 14, v19
	v_mul_lo_u16_e32 v1, 0x60, v0
	v_sub_u16_e32 v1, v23, v1
	v_and_b32_e32 v1, 0xff, v1
	v_mad_u64_u32 v[20:21], s[18:19], v1, 48, s[6:7]
	s_waitcnt lgkmcnt(0)
	s_barrier
	ds_read_b128 v[166:169], v254
	ds_read_b128 v[134:137], v254 offset:12288
	ds_read_b128 v[138:141], v254 offset:24576
	;; [unrolled: 1-line block ×11, first 2 shown]
	global_load_dwordx4 v[122:125], v[20:21], off offset:1472
	global_load_dwordx4 v[126:129], v[20:21], off offset:1456
	;; [unrolled: 1-line block ×3, first 2 shown]
	v_mul_lo_u16_sdwa v16, v15, s10 dst_sel:DWORD dst_unused:UNUSED_PAD src0_sel:WORD_1 src1_sel:DWORD
	v_sub_u16_e32 v16, v218, v16
	v_mul_u32_u24_e32 v17, 0x2ab, v18
	v_mul_u32_u24_e32 v0, 0x180, v0
	v_or_b32_e32 v0, v0, v1
	v_lshlrev_b32_e32 v0, 4, v0
	v_accvgpr_write_b32 a47, v0
	s_mov_b64 s[18:19], 0x180
	s_waitcnt vmcnt(2) lgkmcnt(8)
	v_mul_f64 v[192:193], v[142:143], v[124:125]
	s_waitcnt vmcnt(1)
	v_mul_f64 v[188:189], v[138:139], v[128:129]
	s_waitcnt vmcnt(0)
	v_mul_f64 v[20:21], v[136:137], v[132:133]
	v_fma_f64 v[182:183], v[134:135], v[130:131], -v[20:21]
	v_mul_f64 v[20:21], v[140:141], v[128:129]
	v_fma_f64 v[186:187], v[138:139], v[126:127], -v[20:21]
	;; [unrolled: 2-line block ×3, first 2 shown]
	v_mul_lo_u16_e32 v20, 48, v16
	v_mov_b32_e32 v21, v255
	v_mul_f64 v[184:185], v[134:135], v[132:133]
	v_lshl_add_u64 v[20:21], s[6:7], 0, v[20:21]
	v_fmac_f64_e32 v[184:185], v[136:137], v[130:131]
	v_fmac_f64_e32 v[188:189], v[140:141], v[126:127]
	;; [unrolled: 1-line block ×3, first 2 shown]
	global_load_dwordx4 v[134:137], v[20:21], off offset:1472
	global_load_dwordx4 v[138:141], v[20:21], off offset:1456
	;; [unrolled: 1-line block ×3, first 2 shown]
	s_waitcnt vmcnt(2) lgkmcnt(4)
	v_mul_f64 v[204:205], v[2:3], v[136:137]
	s_waitcnt vmcnt(1)
	v_mul_f64 v[200:201], v[6:7], v[140:141]
	s_waitcnt vmcnt(0)
	v_mul_f64 v[20:21], v[12:13], v[144:145]
	v_fma_f64 v[194:195], v[10:11], v[142:143], -v[20:21]
	v_mul_f64 v[196:197], v[10:11], v[144:145]
	v_mul_f64 v[10:11], v[8:9], v[140:141]
	v_fma_f64 v[198:199], v[6:7], v[138:139], -v[10:11]
	v_mul_f64 v[6:7], v[4:5], v[136:137]
	v_fma_f64 v[202:203], v[2:3], v[134:135], -v[6:7]
	v_mul_lo_u16_sdwa v2, v17, s10 dst_sel:DWORD dst_unused:UNUSED_PAD src0_sel:WORD_1 src1_sel:DWORD
	v_sub_u16_e32 v22, v18, v2
	v_mul_lo_u16_e32 v2, 48, v22
	v_mov_b32_e32 v3, v255
	v_lshl_add_u64 v[2:3], s[6:7], 0, v[2:3]
	global_load_dwordx4 v[146:149], v[2:3], off offset:1472
	global_load_dwordx4 v[150:153], v[2:3], off offset:1456
	;; [unrolled: 1-line block ×3, first 2 shown]
	v_fmac_f64_e32 v[196:197], v[12:13], v[142:143]
	v_add_f64 v[18:19], v[166:167], -v[186:187]
	v_add_f64 v[20:21], v[168:169], -v[188:189]
	;; [unrolled: 1-line block ×4, first 2 shown]
	v_fmac_f64_e32 v[200:201], v[8:9], v[138:139]
	v_fmac_f64_e32 v[204:205], v[4:5], v[134:135]
	v_fma_f64 v[6:7], v[166:167], 2.0, -v[18:19]
	v_fma_f64 v[8:9], v[168:169], 2.0, -v[20:21]
	;; [unrolled: 1-line block ×3, first 2 shown]
	v_add_f64 v[4:5], v[8:9], -v[4:5]
	v_fma_f64 v[8:9], v[8:9], 2.0, -v[4:5]
	v_add_f64 v[10:11], v[18:19], -v[10:11]
	s_movk_i32 s10, 0x180
	v_fma_f64 v[18:19], v[18:19], 2.0, -v[10:11]
	s_waitcnt lgkmcnt(0)
	s_barrier
	s_waitcnt vmcnt(2)
	v_mul_f64 v[212:213], v[170:171], v[148:149]
	s_waitcnt vmcnt(1)
	v_mul_f64 v[208:209], v[174:175], v[152:153]
	;; [unrolled: 2-line block ×3, first 2 shown]
	v_fma_f64 v[206:207], v[178:179], v[154:155], -v[2:3]
	v_mul_f64 v[178:179], v[178:179], v[156:157]
	v_mul_f64 v[2:3], v[176:177], v[152:153]
	v_fmac_f64_e32 v[178:179], v[180:181], v[154:155]
	v_fma_f64 v[180:181], v[174:175], v[150:151], -v[2:3]
	v_mul_f64 v[2:3], v[172:173], v[148:149]
	v_fma_f64 v[210:211], v[170:171], v[146:147], -v[2:3]
	v_fma_f64 v[2:3], v[182:183], 2.0, -v[12:13]
	v_add_f64 v[2:3], v[6:7], -v[2:3]
	v_fmac_f64_e32 v[208:209], v[176:177], v[150:151]
	v_fmac_f64_e32 v[212:213], v[172:173], v[146:147]
	v_fma_f64 v[6:7], v[6:7], 2.0, -v[2:3]
	v_add_f64 v[12:13], v[20:21], v[12:13]
	v_add_f64 v[174:175], v[162:163], -v[198:199]
	v_add_f64 v[176:177], v[164:165], -v[200:201]
	;; [unrolled: 1-line block ×4, first 2 shown]
	v_fma_f64 v[20:21], v[20:21], 2.0, -v[12:13]
	v_fma_f64 v[166:167], v[162:163], 2.0, -v[174:175]
	;; [unrolled: 1-line block ×5, first 2 shown]
	ds_write_b128 v0, v[6:9]
	ds_write_b128 v0, v[18:21] offset:1536
	ds_write_b128 v0, v[2:5] offset:3072
	;; [unrolled: 1-line block ×3, first 2 shown]
	v_mul_lo_u16_sdwa v0, v15, s10 dst_sel:DWORD dst_unused:UNUSED_PAD src0_sel:WORD_1 src1_sel:DWORD
	v_add_f64 v[162:163], v[166:167], -v[162:163]
	v_add_f64 v[164:165], v[168:169], -v[164:165]
	v_or_b32_e32 v0, v0, v16
	v_fma_f64 v[166:167], v[166:167], 2.0, -v[162:163]
	v_fma_f64 v[168:169], v[168:169], 2.0, -v[164:165]
	v_add_f64 v[170:171], v[174:175], -v[170:171]
	v_add_f64 v[172:173], v[176:177], v[172:173]
	v_add_f64 v[186:187], v[158:159], -v[180:181]
	v_add_f64 v[188:189], v[160:161], -v[208:209]
	;; [unrolled: 1-line block ×4, first 2 shown]
	v_lshlrev_b32_sdwa v0, v14, v0 dst_sel:DWORD dst_unused:UNUSED_PAD src0_sel:DWORD src1_sel:WORD_0
	v_fma_f64 v[174:175], v[174:175], 2.0, -v[170:171]
	v_fma_f64 v[176:177], v[176:177], 2.0, -v[172:173]
	;; [unrolled: 1-line block ×6, first 2 shown]
	ds_write_b128 v0, v[166:169]
	ds_write_b128 v0, v[174:177] offset:1536
	ds_write_b128 v0, v[162:165] offset:3072
	;; [unrolled: 1-line block ×3, first 2 shown]
	v_accvgpr_write_b32 a48, v0
	v_mul_lo_u16_sdwa v0, v17, s10 dst_sel:DWORD dst_unused:UNUSED_PAD src0_sel:WORD_1 src1_sel:DWORD
	v_add_f64 v[158:159], v[180:181], -v[158:159]
	v_add_f64 v[160:161], v[182:183], -v[160:161]
	v_or_b32_e32 v0, v0, v22
	v_fma_f64 v[178:179], v[180:181], 2.0, -v[158:159]
	v_fma_f64 v[180:181], v[182:183], 2.0, -v[160:161]
	v_add_f64 v[182:183], v[186:187], -v[190:191]
	v_add_f64 v[184:185], v[188:189], v[184:185]
	v_lshlrev_b32_sdwa v0, v14, v0 dst_sel:DWORD dst_unused:UNUSED_PAD src0_sel:DWORD src1_sel:WORD_0
	v_fma_f64 v[186:187], v[186:187], 2.0, -v[182:183]
	v_fma_f64 v[188:189], v[188:189], 2.0, -v[184:185]
	ds_write_b128 v0, v[178:181]
	ds_write_b128 v0, v[186:189] offset:1536
	ds_write_b128 v0, v[158:161] offset:3072
	;; [unrolled: 1-line block ×3, first 2 shown]
	v_mad_u64_u32 v[182:183], s[10:11], v23, 48, s[6:7]
	v_add_co_u32_e32 v158, vcc, s20, v182
	s_mov_b64 s[10:11], 0x17a0
	s_nop 0
	v_addc_co_u32_e32 v159, vcc, 0, v183, vcc
	s_waitcnt lgkmcnt(0)
	s_barrier
	ds_read_b128 v[202:205], v254
	ds_read_b128 v[18:21], v254 offset:12288
	ds_read_b128 v[170:173], v254 offset:24576
	;; [unrolled: 1-line block ×11, first 2 shown]
	v_lshl_add_u64 v[14:15], v[182:183], 0, s[10:11]
	global_load_dwordx4 v[166:169], v[158:159], off offset:1952
	s_nop 0
	global_load_dwordx4 v[158:161], v[14:15], off offset:32
	global_load_dwordx4 v[162:165], v[14:15], off offset:16
	v_accvgpr_write_b32 a49, v0
	v_add_u32_e32 v0, 0xffffff80, v23
	v_cmp_gt_u64_e32 vcc, s[18:19], v[218:219]
	s_waitcnt vmcnt(2) lgkmcnt(10)
	v_mul_f64 v[14:15], v[20:21], v[168:169]
	v_fma_f64 v[220:221], v[18:19], v[166:167], -v[14:15]
	s_waitcnt vmcnt(0) lgkmcnt(9)
	v_mul_f64 v[14:15], v[172:173], v[164:165]
	v_fma_f64 v[224:225], v[170:171], v[162:163], -v[14:15]
	s_waitcnt lgkmcnt(8)
	v_mul_f64 v[14:15], v[176:177], v[160:161]
	v_fma_f64 v[228:229], v[174:175], v[158:159], -v[14:15]
	v_cndmask_b32_e32 v14, v0, v218, vcc
	v_mul_f64 v[222:223], v[18:19], v[168:169]
	v_mul_hi_i32_i24_e32 v19, 48, v14
	v_mul_i32_i24_e32 v18, 48, v14
	v_lshl_add_u64 v[18:19], s[6:7], 0, v[18:19]
	v_fmac_f64_e32 v[222:223], v[20:21], v[166:167]
	v_lshl_add_u64 v[20:21], v[18:19], 0, s[10:11]
	v_add_co_u32_e32 v18, vcc, s20, v18
	v_mul_f64 v[226:227], v[170:171], v[164:165]
	v_mul_f64 v[230:231], v[174:175], v[160:161]
	v_addc_co_u32_e32 v19, vcc, 0, v19, vcc
	v_fmac_f64_e32 v[226:227], v[172:173], v[162:163]
	v_fmac_f64_e32 v[230:231], v[176:177], v[158:159]
	global_load_dwordx4 v[174:177], v[18:19], off offset:1952
	global_load_dwordx4 v[170:173], v[20:21], off offset:32
	;; [unrolled: 1-line block ×3, first 2 shown]
	s_mov_b64 s[10:11], 0x2fa0
	v_mov_b32_e32 v0, 0x600
	s_waitcnt vmcnt(2) lgkmcnt(6)
	v_mul_f64 v[18:19], v[12:13], v[176:177]
	v_fma_f64 v[232:233], v[10:11], v[174:175], -v[18:19]
	v_mul_f64 v[10:11], v[10:11], v[176:177]
	v_fmac_f64_e32 v[10:11], v[12:13], v[174:175]
	s_waitcnt vmcnt(0) lgkmcnt(5)
	v_mul_f64 v[12:13], v[8:9], v[180:181]
	v_fma_f64 v[12:13], v[6:7], v[178:179], -v[12:13]
	v_mul_f64 v[6:7], v[6:7], v[180:181]
	v_fmac_f64_e32 v[6:7], v[8:9], v[178:179]
	s_waitcnt lgkmcnt(4)
	v_mul_f64 v[8:9], v[4:5], v[172:173]
	v_fma_f64 v[8:9], v[2:3], v[170:171], -v[8:9]
	v_mul_f64 v[2:3], v[2:3], v[172:173]
	v_fmac_f64_e32 v[2:3], v[4:5], v[170:171]
	v_lshl_add_u64 v[4:5], v[182:183], 0, s[10:11]
	s_movk_i32 s10, 0x2000
	v_add_co_u32_e32 v18, vcc, s10, v182
	v_add_f64 v[12:13], v[198:199], -v[12:13]
	s_nop 0
	v_addc_co_u32_e32 v19, vcc, 0, v183, vcc
	global_load_dwordx4 v[190:193], v[18:19], off offset:4000
	global_load_dwordx4 v[182:185], v[4:5], off offset:32
	global_load_dwordx4 v[186:189], v[4:5], off offset:16
	v_add_f64 v[8:9], v[232:233], -v[8:9]
	v_add_f64 v[2:3], v[10:11], -v[2:3]
	s_mov_b64 s[10:11], 0x17f
	v_fma_f64 v[10:11], v[10:11], 2.0, -v[2:3]
	v_cmp_lt_u64_e32 vcc, s[10:11], v[218:219]
	s_waitcnt lgkmcnt(0)
	s_barrier
	v_cndmask_b32_e32 v0, 0, v0, vcc
	v_or_b32_e32 v0, v0, v14
	v_lshl_add_u64 v[14:15], s[6:7], 0, v[254:255]
	v_lshlrev_b32_e32 v31, 4, v0
	s_waitcnt vmcnt(2)
	v_mul_f64 v[4:5], v[216:217], v[192:193]
	s_waitcnt vmcnt(1)
	v_mul_f64 v[242:243], v[206:207], v[184:185]
	;; [unrolled: 2-line block ×3, first 2 shown]
	v_fma_f64 v[236:237], v[210:211], v[186:187], -v[18:19]
	v_mul_f64 v[18:19], v[208:209], v[184:185]
	v_mul_f64 v[238:239], v[210:211], v[188:189]
	v_fma_f64 v[240:241], v[206:207], v[182:183], -v[18:19]
	v_add_f64 v[206:207], v[202:203], -v[224:225]
	v_add_f64 v[210:211], v[220:221], -v[228:229]
	v_fma_f64 v[202:203], v[202:203], 2.0, -v[206:207]
	v_fma_f64 v[18:19], v[220:221], 2.0, -v[210:211]
	v_add_f64 v[18:19], v[202:203], -v[18:19]
	v_fma_f64 v[4:5], v[214:215], v[190:191], -v[4:5]
	v_mul_f64 v[234:235], v[214:215], v[192:193]
	v_fmac_f64_e32 v[238:239], v[212:213], v[186:187]
	v_add_f64 v[212:213], v[222:223], -v[230:231]
	v_fma_f64 v[214:215], v[202:203], 2.0, -v[18:19]
	v_add_f64 v[202:203], v[200:201], -v[6:7]
	v_add_f64 v[220:221], v[206:207], -v[212:213]
	v_fma_f64 v[6:7], v[198:199], 2.0, -v[12:13]
	v_fma_f64 v[198:199], v[200:201], 2.0, -v[202:203]
	;; [unrolled: 1-line block ×3, first 2 shown]
	v_fmac_f64_e32 v[242:243], v[208:209], v[182:183]
	v_add_f64 v[208:209], v[204:205], -v[226:227]
	v_fma_f64 v[224:225], v[206:207], 2.0, -v[220:221]
	v_add_f64 v[206:207], v[6:7], -v[200:201]
	v_fmac_f64_e32 v[234:235], v[216:217], v[190:191]
	v_fma_f64 v[204:205], v[204:205], 2.0, -v[208:209]
	v_fma_f64 v[20:21], v[222:223], 2.0, -v[212:213]
	v_add_f64 v[222:223], v[208:209], v[210:211]
	v_fma_f64 v[210:211], v[6:7], 2.0, -v[206:207]
	v_add_f64 v[6:7], v[12:13], -v[2:3]
	v_add_f64 v[2:3], v[194:195], -v[236:237]
	;; [unrolled: 1-line block ×4, first 2 shown]
	v_fma_f64 v[226:227], v[208:209], 2.0, -v[222:223]
	v_add_f64 v[208:209], v[198:199], -v[10:11]
	v_add_f64 v[228:229], v[196:197], -v[238:239]
	v_fma_f64 v[194:195], v[194:195], 2.0, -v[2:3]
	v_add_f64 v[232:233], v[234:235], -v[242:243]
	v_fma_f64 v[4:5], v[4:5], 2.0, -v[230:231]
	v_fma_f64 v[216:217], v[204:205], 2.0, -v[20:21]
	;; [unrolled: 1-line block ×3, first 2 shown]
	v_add_f64 v[8:9], v[202:203], v[8:9]
	v_fma_f64 v[196:197], v[196:197], 2.0, -v[228:229]
	v_fma_f64 v[200:201], v[234:235], 2.0, -v[232:233]
	v_add_f64 v[198:199], v[194:195], -v[4:5]
	v_fma_f64 v[10:11], v[12:13], 2.0, -v[6:7]
	v_fma_f64 v[12:13], v[202:203], 2.0, -v[8:9]
	v_add_f64 v[200:201], v[196:197], -v[200:201]
	v_fma_f64 v[202:203], v[194:195], 2.0, -v[198:199]
	v_add_f64 v[194:195], v[2:3], -v[232:233]
	ds_write_b128 v254, v[214:217]
	ds_write_b128 v254, v[224:227] offset:6144
	ds_write_b128 v254, v[18:21] offset:12288
	ds_write_b128 v254, v[220:223] offset:18432
	v_add_co_u32_e32 v18, vcc, s17, v14
	v_fma_f64 v[204:205], v[196:197], 2.0, -v[200:201]
	v_add_f64 v[196:197], v[228:229], v[230:231]
	v_fma_f64 v[2:3], v[2:3], 2.0, -v[194:195]
	v_addc_co_u32_e32 v19, vcc, 0, v15, vcc
	v_fma_f64 v[4:5], v[228:229], 2.0, -v[196:197]
	ds_write_b128 v31, v[210:213]
	ds_write_b128 v31, v[10:13] offset:6144
	ds_write_b128 v31, v[206:209] offset:12288
	;; [unrolled: 1-line block ×7, first 2 shown]
	s_waitcnt lgkmcnt(0)
	s_barrier
	ds_read_b128 v[238:241], v254
	ds_read_b128 v[10:13], v254 offset:24576
	ds_read_b128 v[234:237], v254 offset:4096
	;; [unrolled: 1-line block ×11, first 2 shown]
	global_load_dwordx4 v[194:197], v[18:19], off offset:4000
	s_waitcnt vmcnt(0) lgkmcnt(10)
	v_mul_f64 v[18:19], v[12:13], v[196:197]
	v_fma_f64 v[16:17], v[10:11], v[194:195], -v[18:19]
	v_mul_f64 v[10:11], v[10:11], v[196:197]
	v_fmac_f64_e32 v[10:11], v[12:13], v[194:195]
	v_add_co_u32_e32 v12, vcc, s14, v14
	s_nop 1
	v_addc_co_u32_e32 v13, vcc, 0, v15, vcc
	global_load_dwordx4 v[198:201], v[12:13], off offset:4000
	s_waitcnt vmcnt(0) lgkmcnt(8)
	v_mul_f64 v[12:13], v[204:205], v[200:201]
	v_fma_f64 v[12:13], v[202:203], v[198:199], -v[12:13]
	v_mul_f64 v[20:21], v[202:203], v[200:201]
	v_add_co_u32_e32 v202, vcc, s16, v14
	v_fmac_f64_e32 v[20:21], v[204:205], v[198:199]
	s_nop 0
	v_addc_co_u32_e32 v203, vcc, 0, v15, vcc
	global_load_dwordx4 v[202:205], v[202:203], off offset:4000
	s_waitcnt vmcnt(0) lgkmcnt(6)
	v_mul_f64 v[210:211], v[208:209], v[204:205]
	v_fma_f64 v[248:249], v[206:207], v[202:203], -v[210:211]
	v_mul_f64 v[250:251], v[206:207], v[204:205]
	v_add_co_u32_e32 v206, vcc, s13, v14
	v_fmac_f64_e32 v[250:251], v[208:209], v[202:203]
	s_nop 0
	v_addc_co_u32_e32 v207, vcc, 0, v15, vcc
	global_load_dwordx4 v[206:209], v[206:207], off offset:4000
	s_waitcnt vmcnt(0) lgkmcnt(4)
	v_mul_f64 v[210:211], v[8:9], v[208:209]
	v_fma_f64 v[18:19], v[6:7], v[206:207], -v[210:211]
	v_mul_f64 v[4:5], v[6:7], v[208:209]
	v_add_co_u32_e32 v6, vcc, s15, v14
	v_fmac_f64_e32 v[4:5], v[8:9], v[206:207]
	s_nop 0
	v_addc_co_u32_e32 v7, vcc, 0, v15, vcc
	global_load_dwordx4 v[210:213], v[6:7], off offset:4000
	v_add_f64 v[8:9], v[240:241], -v[10:11]
	v_add_f64 v[10:11], v[234:235], -v[12:13]
	v_add_f64 v[12:13], v[236:237], -v[20:21]
	v_fma_f64 v[234:235], v[234:235], 2.0, -v[10:11]
	v_fma_f64 v[236:237], v[236:237], 2.0, -v[12:13]
	s_waitcnt vmcnt(0) lgkmcnt(2)
	v_mul_f64 v[252:253], v[0:1], v[212:213]
	v_mul_f64 v[6:7], v[2:3], v[212:213]
	v_fmac_f64_e32 v[252:253], v[2:3], v[210:211]
	v_add_co_u32_e32 v2, vcc, s12, v14
	v_fma_f64 v[28:29], v[0:1], v[210:211], -v[6:7]
	s_nop 0
	v_addc_co_u32_e32 v3, vcc, 0, v15, vcc
	global_load_dwordx4 v[214:217], v[2:3], off offset:4000
	v_add_f64 v[6:7], v[238:239], -v[16:17]
	v_fma_f64 v[14:15], v[238:239], 2.0, -v[6:7]
	v_fma_f64 v[16:17], v[240:241], 2.0, -v[8:9]
	v_add_f64 v[238:239], v[230:231], -v[248:249]
	v_add_f64 v[240:241], v[232:233], -v[250:251]
	;; [unrolled: 1-line block ×3, first 2 shown]
	v_fma_f64 v[230:231], v[230:231], 2.0, -v[238:239]
	v_fma_f64 v[232:233], v[232:233], 2.0, -v[240:241]
	;; [unrolled: 1-line block ×3, first 2 shown]
	s_waitcnt vmcnt(0) lgkmcnt(0)
	v_mul_f64 v[2:3], v[244:245], v[216:217]
	v_mul_f64 v[0:1], v[242:243], v[216:217]
	v_fma_f64 v[2:3], v[242:243], v[214:215], -v[2:3]
	v_fmac_f64_e32 v[0:1], v[244:245], v[214:215]
	v_add_f64 v[242:243], v[226:227], -v[18:19]
	v_add_f64 v[244:245], v[228:229], -v[4:5]
	;; [unrolled: 1-line block ×5, first 2 shown]
	v_fma_f64 v[226:227], v[226:227], 2.0, -v[242:243]
	v_fma_f64 v[228:229], v[228:229], 2.0, -v[244:245]
	;; [unrolled: 1-line block ×5, first 2 shown]
	ds_write_b128 v254, v[14:17]
	ds_write_b128 v254, v[6:9] offset:24576
	ds_write_b128 v254, v[234:237] offset:4096
	;; [unrolled: 1-line block ×11, first 2 shown]
	s_waitcnt lgkmcnt(0)
	s_barrier
	ds_read_b128 v[2:5], v254
	global_load_dwordx4 v[6:9], v254, s[2:3]
	s_waitcnt vmcnt(0) lgkmcnt(0)
	v_mul_f64 v[0:1], v[4:5], v[8:9]
	v_fma_f64 v[10:11], v[2:3], v[6:7], -v[0:1]
	v_mul_f64 v[12:13], v[2:3], v[8:9]
	v_accvgpr_read_b32 v0, a42
	v_fmac_f64_e32 v[12:13], v[4:5], v[6:7]
	global_load_dwordx4 v[6:9], v0, s[2:3]
	ds_read_b128 v[2:5], v254 offset:8192
	ds_write_b128 v254, v[10:13]
	s_waitcnt vmcnt(0) lgkmcnt(1)
	v_mul_f64 v[0:1], v[4:5], v[8:9]
	v_fma_f64 v[10:11], v[2:3], v[6:7], -v[0:1]
	v_mul_f64 v[12:13], v[2:3], v[8:9]
	v_accvgpr_read_b32 v0, a43
	v_fmac_f64_e32 v[12:13], v[4:5], v[6:7]
	global_load_dwordx4 v[6:9], v0, s[2:3]
	ds_read_b128 v[2:5], v254 offset:16384
	ds_write_b128 v254, v[10:13] offset:8192
	s_waitcnt vmcnt(0) lgkmcnt(1)
	v_mul_f64 v[0:1], v[4:5], v[8:9]
	v_mul_f64 v[12:13], v[2:3], v[8:9]
	v_fma_f64 v[10:11], v[2:3], v[6:7], -v[0:1]
	v_fmac_f64_e32 v[12:13], v[4:5], v[6:7]
	global_load_dwordx4 v[6:9], v27, s[2:3]
	ds_read_b128 v[2:5], v254 offset:24576
	ds_write_b128 v254, v[10:13] offset:16384
	v_mov_b32_e32 v27, v23
	s_waitcnt vmcnt(0) lgkmcnt(1)
	v_mul_f64 v[0:1], v[4:5], v[8:9]
	v_mul_f64 v[12:13], v[2:3], v[8:9]
	v_fma_f64 v[10:11], v[2:3], v[6:7], -v[0:1]
	v_fmac_f64_e32 v[12:13], v[4:5], v[6:7]
	global_load_dwordx4 v[6:9], v247, s[2:3]
	ds_read_b128 v[2:5], v254 offset:32768
	ds_write_b128 v254, v[10:13] offset:24576
	s_waitcnt vmcnt(0) lgkmcnt(1)
	v_mul_f64 v[0:1], v[4:5], v[8:9]
	v_mul_f64 v[12:13], v[2:3], v[8:9]
	v_fma_f64 v[10:11], v[2:3], v[6:7], -v[0:1]
	v_fmac_f64_e32 v[12:13], v[4:5], v[6:7]
	global_load_dwordx4 v[6:9], v25, s[2:3]
	ds_read_b128 v[2:5], v254 offset:40960
	ds_write_b128 v254, v[10:13] offset:32768
	;; [unrolled: 8-line block ×3, first 2 shown]
	s_waitcnt vmcnt(0) lgkmcnt(1)
	v_mul_f64 v[0:1], v[4:5], v[8:9]
	v_fma_f64 v[10:11], v[2:3], v[6:7], -v[0:1]
	v_mul_f64 v[12:13], v[2:3], v[8:9]
	v_accvgpr_read_b32 v0, a41
	v_fmac_f64_e32 v[12:13], v[4:5], v[6:7]
	global_load_dwordx4 v[6:9], v0, s[2:3]
	ds_read_b128 v[2:5], v254 offset:12288
	ds_write_b128 v254, v[10:13] offset:4096
	s_waitcnt vmcnt(0) lgkmcnt(1)
	v_mul_f64 v[0:1], v[4:5], v[8:9]
	v_fma_f64 v[10:11], v[2:3], v[6:7], -v[0:1]
	v_mul_f64 v[12:13], v[2:3], v[8:9]
	v_accvgpr_read_b32 v0, a40
	v_fmac_f64_e32 v[12:13], v[4:5], v[6:7]
	global_load_dwordx4 v[6:9], v0, s[2:3]
	ds_read_b128 v[2:5], v254 offset:20480
	ds_write_b128 v254, v[10:13] offset:12288
	;; [unrolled: 9-line block ×3, first 2 shown]
	s_waitcnt vmcnt(0) lgkmcnt(1)
	v_mul_f64 v[0:1], v[4:5], v[8:9]
	v_mul_f64 v[12:13], v[2:3], v[8:9]
	v_fma_f64 v[10:11], v[2:3], v[6:7], -v[0:1]
	v_fmac_f64_e32 v[12:13], v[4:5], v[6:7]
	global_load_dwordx4 v[6:9], v33, s[2:3]
	ds_read_b128 v[2:5], v254 offset:36864
	ds_write_b128 v254, v[10:13] offset:28672
	s_waitcnt vmcnt(0) lgkmcnt(1)
	v_mul_f64 v[0:1], v[4:5], v[8:9]
	v_mul_f64 v[12:13], v[2:3], v[8:9]
	v_fma_f64 v[10:11], v[2:3], v[6:7], -v[0:1]
	v_fmac_f64_e32 v[12:13], v[4:5], v[6:7]
	global_load_dwordx4 v[6:9], v32, s[2:3]
	ds_read_b128 v[2:5], v254 offset:45056
	ds_write_b128 v254, v[10:13] offset:36864
	s_mov_b32 s2, 0x55555555
	s_mov_b32 s3, 0x3f355555
	s_waitcnt vmcnt(0) lgkmcnt(1)
	v_mul_f64 v[0:1], v[4:5], v[8:9]
	v_mul_f64 v[12:13], v[2:3], v[8:9]
	v_fma_f64 v[10:11], v[2:3], v[6:7], -v[0:1]
	v_fmac_f64_e32 v[12:13], v[4:5], v[6:7]
	ds_write_b128 v254, v[10:13] offset:45056
	s_waitcnt lgkmcnt(0)
	s_barrier
	ds_read_b128 v[246:249], v254
	ds_read_b128 v[4:7], v254 offset:8192
	ds_read_b128 v[226:229], v254 offset:16384
	;; [unrolled: 1-line block ×9, first 2 shown]
	s_waitcnt lgkmcnt(7)
	v_add_f64 v[8:9], v[246:247], v[226:227]
	s_waitcnt lgkmcnt(5)
	v_add_f64 v[10:11], v[8:9], v[242:243]
	v_add_f64 v[8:9], v[226:227], v[242:243]
	v_fmac_f64_e32 v[246:247], -0.5, v[8:9]
	v_add_f64 v[12:13], v[228:229], -v[244:245]
	v_fma_f64 v[8:9], s[8:9], v[12:13], v[246:247]
	v_fmac_f64_e32 v[246:247], s[4:5], v[12:13]
	v_add_f64 v[12:13], v[248:249], v[228:229]
	v_add_f64 v[14:15], v[12:13], v[244:245]
	;; [unrolled: 1-line block ×3, first 2 shown]
	v_fmac_f64_e32 v[248:249], -0.5, v[12:13]
	v_add_f64 v[16:17], v[226:227], -v[242:243]
	s_waitcnt lgkmcnt(4)
	v_add_f64 v[28:29], v[230:231], v[18:19]
	v_fma_f64 v[12:13], s[4:5], v[16:17], v[248:249]
	v_fmac_f64_e32 v[248:249], s[8:9], v[16:17]
	v_add_f64 v[16:17], v[4:5], v[230:231]
	v_fmac_f64_e32 v[4:5], -0.5, v[28:29]
	v_add_f64 v[28:29], v[232:233], -v[20:21]
	v_fma_f64 v[228:229], s[8:9], v[28:29], v[4:5]
	v_fmac_f64_e32 v[4:5], s[4:5], v[28:29]
	v_add_f64 v[28:29], v[6:7], v[232:233]
	v_add_f64 v[28:29], v[28:29], v[20:21]
	;; [unrolled: 1-line block ×4, first 2 shown]
	v_fmac_f64_e32 v[6:7], -0.5, v[20:21]
	v_add_f64 v[18:19], v[230:231], -v[18:19]
	ds_read_b128 v[22:25], v254 offset:36864
	ds_read_b128 v[238:241], v254 offset:45056
	v_fma_f64 v[20:21], s[4:5], v[18:19], v[6:7]
	v_fmac_f64_e32 v[6:7], s[8:9], v[18:19]
	v_mul_f64 v[0:1], v[6:7], s[8:9]
	v_fmac_f64_e32 v[0:1], -0.5, v[4:5]
	v_mul_f64 v[18:19], v[20:21], s[8:9]
	v_add_f64 v[242:243], v[246:247], v[0:1]
	v_mul_f64 v[2:3], v[20:21], 0.5
	v_mul_f64 v[20:21], v[6:7], -0.5
	v_add_f64 v[246:247], v[246:247], -v[0:1]
	s_waitcnt lgkmcnt(3)
	v_add_f64 v[0:1], v[218:219], v[250:251]
	v_add_f64 v[230:231], v[10:11], v[16:17]
	v_fmac_f64_e32 v[20:21], s[4:5], v[4:5]
	v_add_f64 v[4:5], v[10:11], -v[16:17]
	s_waitcnt lgkmcnt(1)
	v_add_f64 v[16:17], v[0:1], v[22:23]
	v_add_f64 v[0:1], v[250:251], v[22:23]
	v_fmac_f64_e32 v[218:219], -0.5, v[0:1]
	v_add_f64 v[0:1], v[252:253], -v[24:25]
	v_add_f64 v[244:245], v[248:249], v[20:21]
	v_add_f64 v[248:249], v[248:249], -v[20:21]
	v_fma_f64 v[20:21], s[8:9], v[0:1], v[218:219]
	v_fmac_f64_e32 v[218:219], s[4:5], v[0:1]
	v_add_f64 v[0:1], v[220:221], v[252:253]
	v_add_f64 v[232:233], v[14:15], v[28:29]
	v_add_f64 v[6:7], v[14:15], -v[28:29]
	v_add_f64 v[28:29], v[0:1], v[24:25]
	v_add_f64 v[0:1], v[252:253], v[24:25]
	v_fmac_f64_e32 v[220:221], -0.5, v[0:1]
	v_add_f64 v[0:1], v[250:251], -v[22:23]
	v_fmac_f64_e32 v[18:19], 0.5, v[228:229]
	v_fma_f64 v[22:23], s[4:5], v[0:1], v[220:221]
	v_fmac_f64_e32 v[220:221], s[8:9], v[0:1]
	v_add_f64 v[0:1], v[222:223], v[234:235]
	v_add_f64 v[226:227], v[8:9], v[18:19]
	v_add_f64 v[8:9], v[8:9], -v[18:19]
	s_waitcnt lgkmcnt(0)
	v_add_f64 v[18:19], v[0:1], v[238:239]
	v_add_f64 v[0:1], v[234:235], v[238:239]
	v_fmac_f64_e32 v[2:3], s[4:5], v[228:229]
	v_fmac_f64_e32 v[222:223], -0.5, v[0:1]
	v_add_f64 v[0:1], v[236:237], -v[240:241]
	v_add_f64 v[228:229], v[12:13], v[2:3]
	v_add_f64 v[10:11], v[12:13], -v[2:3]
	v_fma_f64 v[2:3], s[8:9], v[0:1], v[222:223]
	v_fmac_f64_e32 v[222:223], s[4:5], v[0:1]
	v_add_f64 v[0:1], v[224:225], v[236:237]
	v_add_f64 v[24:25], v[0:1], v[240:241]
	;; [unrolled: 1-line block ×3, first 2 shown]
	v_fmac_f64_e32 v[224:225], -0.5, v[0:1]
	v_add_f64 v[0:1], v[234:235], -v[238:239]
	v_fma_f64 v[14:15], s[4:5], v[0:1], v[224:225]
	v_fmac_f64_e32 v[224:225], s[8:9], v[0:1]
	v_mul_f64 v[32:33], v[14:15], s[8:9]
	v_mul_f64 v[238:239], v[224:225], s[8:9]
	v_mul_f64 v[240:241], v[14:15], 0.5
	v_mul_f64 v[250:251], v[224:225], -0.5
	v_fmac_f64_e32 v[32:33], 0.5, v[2:3]
	v_fmac_f64_e32 v[238:239], -0.5, v[222:223]
	v_fmac_f64_e32 v[240:241], s[4:5], v[2:3]
	v_fmac_f64_e32 v[250:251], s[4:5], v[222:223]
	v_add_f64 v[234:235], v[16:17], v[18:19]
	v_add_f64 v[0:1], v[20:21], v[32:33]
	;; [unrolled: 1-line block ×6, first 2 shown]
	v_add_f64 v[18:19], v[16:17], -v[18:19]
	v_add_f64 v[222:223], v[20:21], -v[32:33]
	;; [unrolled: 1-line block ×6, first 2 shown]
	s_barrier
	ds_write_b128 v30, v[230:233]
	ds_write_b128 v30, v[226:229] offset:16
	ds_write_b128 v30, v[242:245] offset:32
	;; [unrolled: 1-line block ×5, first 2 shown]
	ds_write_b128 v26, v[234:237]
	ds_write_b128 v26, v[0:3] offset:16
	ds_write_b128 v26, v[12:15] offset:32
	;; [unrolled: 1-line block ×5, first 2 shown]
	s_waitcnt lgkmcnt(0)
	s_barrier
	ds_read_b128 v[0:3], v254
	ds_read_b128 v[4:7], v254 offset:12288
	ds_read_b128 v[8:11], v254 offset:24576
	;; [unrolled: 1-line block ×11, first 2 shown]
	s_waitcnt lgkmcnt(10)
	v_mul_f64 v[20:21], v[60:61], v[6:7]
	v_fmac_f64_e32 v[20:21], v[58:59], v[4:5]
	v_mul_f64 v[4:5], v[60:61], v[4:5]
	v_fma_f64 v[4:5], v[58:59], v[6:7], -v[4:5]
	s_waitcnt lgkmcnt(9)
	v_mul_f64 v[6:7], v[56:57], v[10:11]
	v_fmac_f64_e32 v[6:7], v[54:55], v[8:9]
	v_mul_f64 v[8:9], v[56:57], v[8:9]
	v_fma_f64 v[8:9], v[54:55], v[10:11], -v[8:9]
	;; [unrolled: 5-line block ×3, first 2 shown]
	s_waitcnt lgkmcnt(6)
	v_mul_f64 v[14:15], v[72:73], v[218:219]
	v_fma_f64 v[24:25], v[70:71], v[220:221], -v[14:15]
	s_waitcnt lgkmcnt(5)
	v_mul_f64 v[14:15], v[68:69], v[222:223]
	v_mul_f64 v[22:23], v[72:73], v[220:221]
	v_fma_f64 v[32:33], v[66:67], v[224:225], -v[14:15]
	s_waitcnt lgkmcnt(4)
	v_mul_f64 v[14:15], v[64:65], v[226:227]
	v_add_f64 v[6:7], v[0:1], -v[6:7]
	v_add_f64 v[52:53], v[20:21], -v[10:11]
	v_fmac_f64_e32 v[22:23], v[70:71], v[218:219]
	v_mul_f64 v[28:29], v[68:69], v[224:225]
	v_mul_f64 v[58:59], v[64:65], v[228:229]
	v_fma_f64 v[60:61], v[62:63], v[228:229], -v[14:15]
	s_waitcnt lgkmcnt(2)
	v_mul_f64 v[70:71], v[92:93], v[236:237]
	v_mul_f64 v[14:15], v[92:93], v[234:235]
	v_add_f64 v[56:57], v[2:3], -v[8:9]
	v_fma_f64 v[0:1], v[0:1], 2.0, -v[6:7]
	v_add_f64 v[50:51], v[4:5], -v[12:13]
	v_fma_f64 v[8:9], v[20:21], 2.0, -v[52:53]
	v_fmac_f64_e32 v[28:29], v[66:67], v[222:223]
	v_fmac_f64_e32 v[58:59], v[62:63], v[226:227]
	;; [unrolled: 1-line block ×3, first 2 shown]
	v_fma_f64 v[72:73], v[90:91], v[236:237], -v[14:15]
	s_waitcnt lgkmcnt(1)
	v_mul_f64 v[90:91], v[80:81], v[240:241]
	v_mul_f64 v[14:15], v[80:81], v[238:239]
	v_fma_f64 v[2:3], v[2:3], 2.0, -v[56:57]
	v_fma_f64 v[4:5], v[4:5], 2.0, -v[50:51]
	v_add_f64 v[8:9], v[0:1], -v[8:9]
	v_fmac_f64_e32 v[90:91], v[78:79], v[238:239]
	v_fma_f64 v[78:79], v[78:79], v[240:241], -v[14:15]
	s_waitcnt lgkmcnt(0)
	v_mul_f64 v[80:81], v[76:77], v[244:245]
	v_mul_f64 v[14:15], v[76:77], v[242:243]
	v_add_f64 v[10:11], v[2:3], -v[4:5]
	v_fma_f64 v[12:13], v[0:1], 2.0, -v[8:9]
	v_add_f64 v[0:1], v[16:17], -v[28:29]
	v_add_f64 v[20:21], v[22:23], -v[58:59]
	v_fmac_f64_e32 v[80:81], v[74:75], v[242:243]
	v_fma_f64 v[74:75], v[74:75], v[244:245], -v[14:15]
	v_fma_f64 v[14:15], v[2:3], 2.0, -v[10:11]
	v_add_f64 v[50:51], v[6:7], v[50:51]
	v_add_f64 v[2:3], v[18:19], -v[32:33]
	v_fma_f64 v[4:5], v[16:17], 2.0, -v[0:1]
	v_add_f64 v[28:29], v[24:25], -v[60:61]
	v_fma_f64 v[16:17], v[22:23], 2.0, -v[20:21]
	v_fma_f64 v[54:55], v[6:7], 2.0, -v[50:51]
	;; [unrolled: 1-line block ×4, first 2 shown]
	v_add_f64 v[16:17], v[4:5], -v[16:17]
	v_add_f64 v[62:63], v[0:1], v[28:29]
	v_add_f64 v[64:65], v[2:3], -v[20:21]
	v_add_f64 v[20:21], v[230:231], -v[90:91]
	;; [unrolled: 1-line block ×3, first 2 shown]
	v_fma_f64 v[58:59], v[4:5], 2.0, -v[16:17]
	v_fma_f64 v[66:67], v[0:1], 2.0, -v[62:63]
	;; [unrolled: 1-line block ×4, first 2 shown]
	v_add_f64 v[18:19], v[6:7], -v[18:19]
	v_add_f64 v[22:23], v[232:233], -v[78:79]
	;; [unrolled: 1-line block ×4, first 2 shown]
	v_fma_f64 v[60:61], v[6:7], 2.0, -v[18:19]
	v_fma_f64 v[68:69], v[2:3], 2.0, -v[64:65]
	;; [unrolled: 1-line block ×5, first 2 shown]
	v_add_f64 v[0:1], v[20:21], v[28:29]
	v_add_f64 v[52:53], v[56:57], -v[52:53]
	v_add_f64 v[6:7], v[2:3], -v[6:7]
	v_fma_f64 v[74:75], v[20:21], 2.0, -v[0:1]
	v_accvgpr_read_b32 v20, a38
	v_fma_f64 v[56:57], v[56:57], 2.0, -v[52:53]
	v_fma_f64 v[72:73], v[2:3], 2.0, -v[6:7]
	v_add_f64 v[2:3], v[22:23], -v[24:25]
	s_barrier
	ds_write_b128 v20, v[12:15]
	ds_write_b128 v20, v[54:57] offset:96
	ds_write_b128 v20, v[8:11] offset:192
	;; [unrolled: 1-line block ×3, first 2 shown]
	v_accvgpr_read_b32 v8, a37
	v_fma_f64 v[76:77], v[22:23], 2.0, -v[2:3]
	ds_write_b128 v8, v[58:61]
	ds_write_b128 v8, v[66:69] offset:96
	ds_write_b128 v8, v[16:19] offset:192
	;; [unrolled: 1-line block ×3, first 2 shown]
	v_accvgpr_read_b32 v8, a36
	ds_write_b128 v8, v[70:73]
	ds_write_b128 v8, v[74:77] offset:96
	ds_write_b128 v8, v[4:7] offset:192
	;; [unrolled: 1-line block ×3, first 2 shown]
	s_waitcnt lgkmcnt(0)
	s_barrier
	ds_read_b128 v[0:3], v254
	ds_read_b128 v[4:7], v254 offset:12288
	ds_read_b128 v[8:11], v254 offset:24576
	;; [unrolled: 1-line block ×11, first 2 shown]
	s_waitcnt lgkmcnt(10)
	v_mul_f64 v[20:21], v[96:97], v[6:7]
	v_fmac_f64_e32 v[20:21], v[94:95], v[4:5]
	v_mul_f64 v[4:5], v[96:97], v[4:5]
	v_fma_f64 v[4:5], v[94:95], v[6:7], -v[4:5]
	s_waitcnt lgkmcnt(9)
	v_mul_f64 v[6:7], v[88:89], v[10:11]
	v_fmac_f64_e32 v[6:7], v[86:87], v[8:9]
	v_mul_f64 v[8:9], v[88:89], v[8:9]
	v_fma_f64 v[8:9], v[86:87], v[10:11], -v[8:9]
	;; [unrolled: 5-line block ×3, first 2 shown]
	s_waitcnt lgkmcnt(6)
	v_mul_f64 v[14:15], v[108:109], v[50:51]
	v_fma_f64 v[24:25], v[106:107], v[52:53], -v[14:15]
	s_waitcnt lgkmcnt(5)
	v_mul_f64 v[14:15], v[104:105], v[54:55]
	v_fma_f64 v[32:33], v[102:103], v[56:57], -v[14:15]
	s_waitcnt lgkmcnt(4)
	v_mul_f64 v[14:15], v[100:101], v[58:59]
	v_mul_f64 v[22:23], v[108:109], v[52:53]
	v_fma_f64 v[52:53], v[98:99], v[60:61], -v[14:15]
	s_waitcnt lgkmcnt(2)
	v_mul_f64 v[78:79], v[120:121], v[68:69]
	v_mul_f64 v[14:15], v[120:121], v[66:67]
	v_fmac_f64_e32 v[78:79], v[118:119], v[66:67]
	v_fma_f64 v[66:67], v[118:119], v[68:69], -v[14:15]
	s_waitcnt lgkmcnt(1)
	v_mul_f64 v[68:69], v[116:117], v[72:73]
	v_mul_f64 v[14:15], v[116:117], v[70:71]
	;; [unrolled: 1-line block ×3, first 2 shown]
	v_fmac_f64_e32 v[68:69], v[114:115], v[70:71]
	v_fma_f64 v[70:71], v[114:115], v[72:73], -v[14:15]
	s_waitcnt lgkmcnt(0)
	v_mul_f64 v[72:73], v[112:113], v[76:77]
	v_mul_f64 v[14:15], v[112:113], v[74:75]
	v_fmac_f64_e32 v[28:29], v[102:103], v[54:55]
	v_fmac_f64_e32 v[72:73], v[110:111], v[74:75]
	v_fma_f64 v[74:75], v[110:111], v[76:77], -v[14:15]
	v_add_f64 v[14:15], v[0:1], -v[6:7]
	v_add_f64 v[54:55], v[2:3], -v[8:9]
	;; [unrolled: 1-line block ×4, first 2 shown]
	v_fma_f64 v[6:7], v[0:1], 2.0, -v[14:15]
	v_fma_f64 v[8:9], v[2:3], 2.0, -v[54:55]
	;; [unrolled: 1-line block ×4, first 2 shown]
	v_fmac_f64_e32 v[22:23], v[106:107], v[50:51]
	v_mul_f64 v[50:51], v[100:101], v[60:61]
	v_add_f64 v[0:1], v[6:7], -v[0:1]
	v_add_f64 v[2:3], v[8:9], -v[2:3]
	v_fmac_f64_e32 v[50:51], v[98:99], v[58:59]
	v_fma_f64 v[4:5], v[6:7], 2.0, -v[0:1]
	v_fma_f64 v[6:7], v[8:9], 2.0, -v[2:3]
	v_add_f64 v[8:9], v[14:15], v[12:13]
	v_add_f64 v[10:11], v[54:55], -v[10:11]
	v_add_f64 v[20:21], v[16:17], -v[28:29]
	;; [unrolled: 1-line block ×4, first 2 shown]
	v_fma_f64 v[12:13], v[14:15], 2.0, -v[8:9]
	v_fma_f64 v[14:15], v[54:55], 2.0, -v[10:11]
	;; [unrolled: 1-line block ×4, first 2 shown]
	v_add_f64 v[56:57], v[22:23], -v[50:51]
	v_add_f64 v[18:19], v[54:55], -v[18:19]
	v_fma_f64 v[32:33], v[16:17], 2.0, -v[20:21]
	v_fma_f64 v[16:17], v[22:23], 2.0, -v[56:57]
	;; [unrolled: 1-line block ×3, first 2 shown]
	v_add_f64 v[54:55], v[20:21], v[58:59]
	v_add_f64 v[16:17], v[32:33], -v[16:17]
	v_add_f64 v[56:57], v[28:29], -v[56:57]
	v_fma_f64 v[58:59], v[20:21], 2.0, -v[54:55]
	v_add_f64 v[20:21], v[62:63], -v[68:69]
	v_add_f64 v[22:23], v[64:65], -v[70:71]
	;; [unrolled: 1-line block ×3, first 2 shown]
	v_fma_f64 v[50:51], v[32:33], 2.0, -v[16:17]
	v_fma_f64 v[60:61], v[28:29], 2.0, -v[56:57]
	;; [unrolled: 1-line block ×3, first 2 shown]
	v_add_f64 v[32:33], v[78:79], -v[72:73]
	v_fma_f64 v[64:65], v[66:67], 2.0, -v[70:71]
	v_add_f64 v[70:71], v[20:21], v[70:71]
	v_fma_f64 v[24:25], v[62:63], 2.0, -v[20:21]
	v_fma_f64 v[62:63], v[78:79], 2.0, -v[32:33]
	;; [unrolled: 1-line block ×3, first 2 shown]
	v_accvgpr_read_b32 v20, a44
	v_add_f64 v[62:63], v[24:25], -v[62:63]
	v_add_f64 v[64:65], v[28:29], -v[64:65]
	;; [unrolled: 1-line block ×3, first 2 shown]
	s_barrier
	ds_write_b128 v20, v[4:7]
	ds_write_b128 v20, v[12:15] offset:384
	ds_write_b128 v20, v[0:3] offset:768
	ds_write_b128 v20, v[8:11] offset:1152
	v_accvgpr_read_b32 v0, a45
	v_fma_f64 v[66:67], v[24:25], 2.0, -v[62:63]
	v_fma_f64 v[68:69], v[28:29], 2.0, -v[64:65]
	;; [unrolled: 1-line block ×3, first 2 shown]
	ds_write_b128 v0, v[50:53]
	ds_write_b128 v0, v[58:61] offset:384
	ds_write_b128 v0, v[16:19] offset:768
	;; [unrolled: 1-line block ×3, first 2 shown]
	v_accvgpr_read_b32 v0, a46
	ds_write_b128 v0, v[66:69]
	ds_write_b128 v0, v[74:77] offset:384
	ds_write_b128 v0, v[62:65] offset:768
	;; [unrolled: 1-line block ×3, first 2 shown]
	s_waitcnt lgkmcnt(0)
	s_barrier
	ds_read_b128 v[0:3], v254
	ds_read_b128 v[4:7], v254 offset:12288
	ds_read_b128 v[8:11], v254 offset:24576
	;; [unrolled: 1-line block ×11, first 2 shown]
	s_waitcnt lgkmcnt(10)
	v_mul_f64 v[20:21], v[132:133], v[6:7]
	v_fmac_f64_e32 v[20:21], v[130:131], v[4:5]
	v_mul_f64 v[4:5], v[132:133], v[4:5]
	v_fma_f64 v[4:5], v[130:131], v[6:7], -v[4:5]
	s_waitcnt lgkmcnt(9)
	v_mul_f64 v[6:7], v[128:129], v[10:11]
	v_fmac_f64_e32 v[6:7], v[126:127], v[8:9]
	v_mul_f64 v[8:9], v[128:129], v[8:9]
	v_fma_f64 v[8:9], v[126:127], v[10:11], -v[8:9]
	;; [unrolled: 5-line block ×3, first 2 shown]
	s_waitcnt lgkmcnt(6)
	v_mul_f64 v[14:15], v[144:145], v[50:51]
	v_fma_f64 v[24:25], v[142:143], v[52:53], -v[14:15]
	s_waitcnt lgkmcnt(5)
	v_mul_f64 v[14:15], v[140:141], v[54:55]
	v_fma_f64 v[32:33], v[138:139], v[56:57], -v[14:15]
	s_waitcnt lgkmcnt(4)
	v_mul_f64 v[14:15], v[136:137], v[58:59]
	v_mul_f64 v[22:23], v[144:145], v[52:53]
	v_fma_f64 v[52:53], v[134:135], v[60:61], -v[14:15]
	s_waitcnt lgkmcnt(2)
	v_mul_f64 v[78:79], v[156:157], v[68:69]
	v_mul_f64 v[14:15], v[156:157], v[66:67]
	v_fmac_f64_e32 v[78:79], v[154:155], v[66:67]
	v_fma_f64 v[66:67], v[154:155], v[68:69], -v[14:15]
	s_waitcnt lgkmcnt(1)
	v_mul_f64 v[68:69], v[152:153], v[72:73]
	v_mul_f64 v[14:15], v[152:153], v[70:71]
	;; [unrolled: 1-line block ×3, first 2 shown]
	v_fmac_f64_e32 v[68:69], v[150:151], v[70:71]
	v_fma_f64 v[70:71], v[150:151], v[72:73], -v[14:15]
	s_waitcnt lgkmcnt(0)
	v_mul_f64 v[72:73], v[148:149], v[76:77]
	v_mul_f64 v[14:15], v[148:149], v[74:75]
	v_fmac_f64_e32 v[28:29], v[138:139], v[54:55]
	v_fmac_f64_e32 v[72:73], v[146:147], v[74:75]
	v_fma_f64 v[74:75], v[146:147], v[76:77], -v[14:15]
	v_add_f64 v[14:15], v[0:1], -v[6:7]
	v_add_f64 v[54:55], v[2:3], -v[8:9]
	;; [unrolled: 1-line block ×4, first 2 shown]
	v_fma_f64 v[6:7], v[0:1], 2.0, -v[14:15]
	v_fma_f64 v[8:9], v[2:3], 2.0, -v[54:55]
	;; [unrolled: 1-line block ×4, first 2 shown]
	v_fmac_f64_e32 v[22:23], v[142:143], v[50:51]
	v_mul_f64 v[50:51], v[136:137], v[60:61]
	v_add_f64 v[0:1], v[6:7], -v[0:1]
	v_add_f64 v[2:3], v[8:9], -v[2:3]
	v_fmac_f64_e32 v[50:51], v[134:135], v[58:59]
	v_fma_f64 v[4:5], v[6:7], 2.0, -v[0:1]
	v_fma_f64 v[6:7], v[8:9], 2.0, -v[2:3]
	v_add_f64 v[8:9], v[14:15], v[12:13]
	v_add_f64 v[10:11], v[54:55], -v[10:11]
	v_add_f64 v[20:21], v[16:17], -v[28:29]
	;; [unrolled: 1-line block ×4, first 2 shown]
	v_fma_f64 v[12:13], v[14:15], 2.0, -v[8:9]
	v_fma_f64 v[14:15], v[54:55], 2.0, -v[10:11]
	;; [unrolled: 1-line block ×4, first 2 shown]
	v_add_f64 v[56:57], v[22:23], -v[50:51]
	v_add_f64 v[18:19], v[54:55], -v[18:19]
	v_fma_f64 v[32:33], v[16:17], 2.0, -v[20:21]
	v_fma_f64 v[16:17], v[22:23], 2.0, -v[56:57]
	;; [unrolled: 1-line block ×3, first 2 shown]
	v_add_f64 v[54:55], v[20:21], v[58:59]
	v_add_f64 v[16:17], v[32:33], -v[16:17]
	v_add_f64 v[56:57], v[28:29], -v[56:57]
	v_fma_f64 v[58:59], v[20:21], 2.0, -v[54:55]
	v_add_f64 v[20:21], v[62:63], -v[68:69]
	v_add_f64 v[22:23], v[64:65], -v[70:71]
	;; [unrolled: 1-line block ×3, first 2 shown]
	v_fma_f64 v[50:51], v[32:33], 2.0, -v[16:17]
	v_fma_f64 v[60:61], v[28:29], 2.0, -v[56:57]
	;; [unrolled: 1-line block ×3, first 2 shown]
	v_add_f64 v[32:33], v[78:79], -v[72:73]
	v_fma_f64 v[64:65], v[66:67], 2.0, -v[70:71]
	v_add_f64 v[70:71], v[20:21], v[70:71]
	v_fma_f64 v[24:25], v[62:63], 2.0, -v[20:21]
	v_fma_f64 v[62:63], v[78:79], 2.0, -v[32:33]
	;; [unrolled: 1-line block ×3, first 2 shown]
	v_accvgpr_read_b32 v20, a47
	v_add_f64 v[62:63], v[24:25], -v[62:63]
	v_add_f64 v[64:65], v[28:29], -v[64:65]
	;; [unrolled: 1-line block ×3, first 2 shown]
	s_barrier
	ds_write_b128 v20, v[4:7]
	ds_write_b128 v20, v[12:15] offset:1536
	ds_write_b128 v20, v[0:3] offset:3072
	;; [unrolled: 1-line block ×3, first 2 shown]
	v_accvgpr_read_b32 v0, a48
	v_fma_f64 v[66:67], v[24:25], 2.0, -v[62:63]
	v_fma_f64 v[68:69], v[28:29], 2.0, -v[64:65]
	;; [unrolled: 1-line block ×3, first 2 shown]
	ds_write_b128 v0, v[50:53]
	ds_write_b128 v0, v[58:61] offset:1536
	ds_write_b128 v0, v[16:19] offset:3072
	;; [unrolled: 1-line block ×3, first 2 shown]
	v_accvgpr_read_b32 v0, a49
	ds_write_b128 v0, v[66:69]
	ds_write_b128 v0, v[74:77] offset:1536
	ds_write_b128 v0, v[62:65] offset:3072
	;; [unrolled: 1-line block ×3, first 2 shown]
	s_waitcnt lgkmcnt(0)
	s_barrier
	ds_read_b128 v[0:3], v254
	ds_read_b128 v[4:7], v254 offset:12288
	ds_read_b128 v[8:11], v254 offset:24576
	;; [unrolled: 1-line block ×11, first 2 shown]
	s_waitcnt lgkmcnt(10)
	v_mul_f64 v[20:21], v[168:169], v[6:7]
	v_fmac_f64_e32 v[20:21], v[166:167], v[4:5]
	v_mul_f64 v[4:5], v[168:169], v[4:5]
	v_fma_f64 v[4:5], v[166:167], v[6:7], -v[4:5]
	s_waitcnt lgkmcnt(9)
	v_mul_f64 v[6:7], v[164:165], v[10:11]
	v_fmac_f64_e32 v[6:7], v[162:163], v[8:9]
	v_mul_f64 v[8:9], v[164:165], v[8:9]
	v_fma_f64 v[8:9], v[162:163], v[10:11], -v[8:9]
	;; [unrolled: 5-line block ×3, first 2 shown]
	s_waitcnt lgkmcnt(6)
	v_mul_f64 v[14:15], v[176:177], v[50:51]
	v_fma_f64 v[24:25], v[174:175], v[52:53], -v[14:15]
	s_waitcnt lgkmcnt(5)
	v_mul_f64 v[14:15], v[180:181], v[54:55]
	v_fma_f64 v[32:33], v[178:179], v[56:57], -v[14:15]
	s_waitcnt lgkmcnt(4)
	v_mul_f64 v[14:15], v[172:173], v[58:59]
	v_mul_f64 v[22:23], v[176:177], v[52:53]
	v_fma_f64 v[52:53], v[170:171], v[60:61], -v[14:15]
	s_waitcnt lgkmcnt(2)
	v_mul_f64 v[78:79], v[192:193], v[68:69]
	v_mul_f64 v[14:15], v[192:193], v[66:67]
	v_fmac_f64_e32 v[78:79], v[190:191], v[66:67]
	v_fma_f64 v[66:67], v[190:191], v[68:69], -v[14:15]
	s_waitcnt lgkmcnt(1)
	v_mul_f64 v[68:69], v[188:189], v[72:73]
	v_mul_f64 v[14:15], v[188:189], v[70:71]
	;; [unrolled: 1-line block ×3, first 2 shown]
	v_fmac_f64_e32 v[68:69], v[186:187], v[70:71]
	v_fma_f64 v[70:71], v[186:187], v[72:73], -v[14:15]
	s_waitcnt lgkmcnt(0)
	v_mul_f64 v[72:73], v[184:185], v[76:77]
	v_mul_f64 v[14:15], v[184:185], v[74:75]
	v_fmac_f64_e32 v[28:29], v[178:179], v[54:55]
	v_fmac_f64_e32 v[72:73], v[182:183], v[74:75]
	v_fma_f64 v[74:75], v[182:183], v[76:77], -v[14:15]
	v_add_f64 v[14:15], v[0:1], -v[6:7]
	v_add_f64 v[54:55], v[2:3], -v[8:9]
	v_add_f64 v[10:11], v[20:21], -v[10:11]
	v_add_f64 v[12:13], v[4:5], -v[12:13]
	v_fma_f64 v[6:7], v[0:1], 2.0, -v[14:15]
	v_fma_f64 v[8:9], v[2:3], 2.0, -v[54:55]
	v_fma_f64 v[0:1], v[20:21], 2.0, -v[10:11]
	v_fma_f64 v[2:3], v[4:5], 2.0, -v[12:13]
	v_fmac_f64_e32 v[22:23], v[174:175], v[50:51]
	v_mul_f64 v[50:51], v[172:173], v[60:61]
	v_add_f64 v[0:1], v[6:7], -v[0:1]
	v_add_f64 v[2:3], v[8:9], -v[2:3]
	v_fmac_f64_e32 v[50:51], v[170:171], v[58:59]
	v_fma_f64 v[4:5], v[6:7], 2.0, -v[0:1]
	v_fma_f64 v[6:7], v[8:9], 2.0, -v[2:3]
	v_add_f64 v[8:9], v[14:15], v[12:13]
	v_add_f64 v[10:11], v[54:55], -v[10:11]
	v_add_f64 v[20:21], v[16:17], -v[28:29]
	;; [unrolled: 1-line block ×4, first 2 shown]
	v_fma_f64 v[12:13], v[14:15], 2.0, -v[8:9]
	v_fma_f64 v[14:15], v[54:55], 2.0, -v[10:11]
	;; [unrolled: 1-line block ×3, first 2 shown]
	v_add_f64 v[56:57], v[22:23], -v[50:51]
	v_fma_f64 v[18:19], v[24:25], 2.0, -v[58:59]
	v_fma_f64 v[32:33], v[16:17], 2.0, -v[20:21]
	;; [unrolled: 1-line block ×3, first 2 shown]
	v_add_f64 v[18:19], v[54:55], -v[18:19]
	v_add_f64 v[16:17], v[32:33], -v[16:17]
	v_fma_f64 v[52:53], v[54:55], 2.0, -v[18:19]
	v_add_f64 v[54:55], v[20:21], v[58:59]
	v_fma_f64 v[50:51], v[32:33], 2.0, -v[16:17]
	v_add_f64 v[56:57], v[28:29], -v[56:57]
	v_fma_f64 v[58:59], v[20:21], 2.0, -v[54:55]
	v_add_f64 v[20:21], v[62:63], -v[68:69]
	v_add_f64 v[22:23], v[64:65], -v[70:71]
	;; [unrolled: 1-line block ×4, first 2 shown]
	v_fma_f64 v[60:61], v[28:29], 2.0, -v[56:57]
	v_fma_f64 v[24:25], v[62:63], 2.0, -v[20:21]
	;; [unrolled: 1-line block ×5, first 2 shown]
	v_add_f64 v[62:63], v[24:25], -v[62:63]
	v_add_f64 v[64:65], v[28:29], -v[64:65]
	v_add_f64 v[70:71], v[20:21], v[70:71]
	v_add_f64 v[72:73], v[22:23], -v[32:33]
	v_fma_f64 v[66:67], v[24:25], 2.0, -v[62:63]
	v_fma_f64 v[68:69], v[28:29], 2.0, -v[64:65]
	;; [unrolled: 1-line block ×4, first 2 shown]
	s_barrier
	ds_write_b128 v254, v[4:7]
	ds_write_b128 v254, v[12:15] offset:6144
	ds_write_b128 v254, v[0:3] offset:12288
	;; [unrolled: 1-line block ×3, first 2 shown]
	ds_write_b128 v31, v[50:53]
	ds_write_b128 v31, v[58:61] offset:6144
	ds_write_b128 v31, v[16:19] offset:12288
	;; [unrolled: 1-line block ×7, first 2 shown]
	s_waitcnt lgkmcnt(0)
	s_barrier
	ds_read_b128 v[0:3], v254
	ds_read_b128 v[4:7], v254 offset:24576
	ds_read_b128 v[8:11], v254 offset:4096
	;; [unrolled: 1-line block ×11, first 2 shown]
	s_waitcnt lgkmcnt(10)
	v_mul_f64 v[20:21], v[196:197], v[6:7]
	v_fmac_f64_e32 v[20:21], v[194:195], v[4:5]
	v_mul_f64 v[4:5], v[196:197], v[4:5]
	v_fma_f64 v[6:7], v[194:195], v[6:7], -v[4:5]
	s_waitcnt lgkmcnt(8)
	v_mul_f64 v[4:5], v[200:201], v[12:13]
	v_mul_f64 v[22:23], v[200:201], v[14:15]
	v_fma_f64 v[14:15], v[198:199], v[14:15], -v[4:5]
	s_waitcnt lgkmcnt(6)
	v_mul_f64 v[4:5], v[204:205], v[50:51]
	v_fma_f64 v[28:29], v[202:203], v[52:53], -v[4:5]
	s_waitcnt lgkmcnt(4)
	;; [unrolled: 3-line block ×3, first 2 shown]
	v_mul_f64 v[4:5], v[212:213], v[66:67]
	v_mul_f64 v[24:25], v[204:205], v[52:53]
	;; [unrolled: 1-line block ×4, first 2 shown]
	v_fma_f64 v[68:69], v[210:211], v[68:69], -v[4:5]
	s_waitcnt lgkmcnt(0)
	v_mul_f64 v[80:81], v[216:217], v[76:77]
	v_mul_f64 v[4:5], v[216:217], v[74:75]
	v_fmac_f64_e32 v[22:23], v[198:199], v[12:13]
	v_fmac_f64_e32 v[24:25], v[202:203], v[50:51]
	;; [unrolled: 1-line block ×5, first 2 shown]
	v_fma_f64 v[76:77], v[214:215], v[76:77], -v[4:5]
	v_add_f64 v[4:5], v[0:1], -v[20:21]
	v_add_f64 v[6:7], v[2:3], -v[6:7]
	v_fma_f64 v[0:1], v[0:1], 2.0, -v[4:5]
	v_fma_f64 v[2:3], v[2:3], 2.0, -v[6:7]
	v_add_f64 v[12:13], v[8:9], -v[22:23]
	v_add_f64 v[14:15], v[10:11], -v[14:15]
	;; [unrolled: 1-line block ×10, first 2 shown]
	v_fma_f64 v[8:9], v[8:9], 2.0, -v[12:13]
	v_fma_f64 v[10:11], v[10:11], 2.0, -v[14:15]
	;; [unrolled: 1-line block ×10, first 2 shown]
	ds_write_b128 v254, v[0:3]
	ds_write_b128 v254, v[4:7] offset:24576
	ds_write_b128 v254, v[8:11] offset:4096
	;; [unrolled: 1-line block ×11, first 2 shown]
	s_waitcnt lgkmcnt(0)
	s_barrier
	ds_read_b128 v[0:3], v254
	v_accvgpr_read_b32 v6, a28
	v_accvgpr_read_b32 v8, a30
	;; [unrolled: 1-line block ×4, first 2 shown]
	s_waitcnt lgkmcnt(0)
	v_mul_f64 v[4:5], v[8:9], v[2:3]
	v_fmac_f64_e32 v[4:5], v[6:7], v[0:1]
	v_mul_f64 v[0:1], v[8:9], v[0:1]
	v_fma_f64 v[0:1], v[6:7], v[2:3], -v[0:1]
	v_mul_f64 v[6:7], v[0:1], s[2:3]
	v_mad_u64_u32 v[0:1], s[4:5], s0, v27, 0
	v_mov_b32_e32 v2, v1
	v_mad_u64_u32 v[2:3], s[4:5], s1, v27, v[2:3]
	v_mov_b32_e32 v1, v2
	v_accvgpr_read_b32 v2, a4
	v_accvgpr_read_b32 v9, a7
	;; [unrolled: 1-line block ×4, first 2 shown]
	v_lshl_add_u64 v[2:3], v[8:9], 4, v[2:3]
	v_lshl_add_u64 v[8:9], v[0:1], 4, v[2:3]
	ds_read_b128 v[0:3], v254 offset:8192
	v_accvgpr_read_b32 v10, a32
	v_mul_f64 v[4:5], v[4:5], s[2:3]
	v_accvgpr_read_b32 v12, a34
	v_accvgpr_read_b32 v13, a35
	global_store_dwordx4 v[8:9], v[4:7], off
	v_accvgpr_read_b32 v11, a33
	s_lshl_b64 s[4:5], s[0:1], 13
	s_waitcnt lgkmcnt(0)
	v_mul_f64 v[4:5], v[12:13], v[2:3]
	v_fmac_f64_e32 v[4:5], v[10:11], v[0:1]
	v_mul_f64 v[0:1], v[12:13], v[0:1]
	v_fma_f64 v[0:1], v[10:11], v[2:3], -v[0:1]
	v_mul_f64 v[6:7], v[0:1], s[2:3]
	ds_read_b128 v[0:3], v254 offset:16384
	v_mul_f64 v[4:5], v[4:5], s[2:3]
	v_lshl_add_u64 v[8:9], v[8:9], 0, s[4:5]
	global_store_dwordx4 v[8:9], v[4:7], off
	v_lshl_add_u64 v[8:9], v[8:9], 0, s[4:5]
	s_mul_i32 s1, s1, 0xffff7000
	s_waitcnt lgkmcnt(0)
	v_mul_f64 v[4:5], v[36:37], v[2:3]
	v_fmac_f64_e32 v[4:5], v[34:35], v[0:1]
	v_mul_f64 v[0:1], v[36:37], v[0:1]
	v_fma_f64 v[0:1], v[34:35], v[2:3], -v[0:1]
	v_mul_f64 v[6:7], v[0:1], s[2:3]
	ds_read_b128 v[0:3], v254 offset:24576
	v_mul_f64 v[4:5], v[4:5], s[2:3]
	global_store_dwordx4 v[8:9], v[4:7], off
	v_lshl_add_u64 v[8:9], v[8:9], 0, s[4:5]
	s_waitcnt lgkmcnt(0)
	v_mul_f64 v[4:5], v[40:41], v[2:3]
	v_fmac_f64_e32 v[4:5], v[38:39], v[0:1]
	v_mul_f64 v[0:1], v[40:41], v[0:1]
	v_fma_f64 v[0:1], v[38:39], v[2:3], -v[0:1]
	v_mul_f64 v[6:7], v[0:1], s[2:3]
	ds_read_b128 v[0:3], v254 offset:32768
	v_mul_f64 v[4:5], v[4:5], s[2:3]
	global_store_dwordx4 v[8:9], v[4:7], off
	v_lshl_add_u64 v[8:9], v[8:9], 0, s[4:5]
	s_waitcnt lgkmcnt(0)
	v_mul_f64 v[4:5], v[44:45], v[2:3]
	v_fmac_f64_e32 v[4:5], v[42:43], v[0:1]
	v_mul_f64 v[0:1], v[44:45], v[0:1]
	v_fma_f64 v[0:1], v[42:43], v[2:3], -v[0:1]
	v_mul_f64 v[6:7], v[0:1], s[2:3]
	ds_read_b128 v[0:3], v254 offset:40960
	v_mul_f64 v[4:5], v[4:5], s[2:3]
	global_store_dwordx4 v[8:9], v[4:7], off
	s_waitcnt lgkmcnt(0)
	s_nop 0
	v_mul_f64 v[4:5], v[48:49], v[2:3]
	v_fmac_f64_e32 v[4:5], v[46:47], v[0:1]
	v_mul_f64 v[0:1], v[48:49], v[0:1]
	v_fma_f64 v[0:1], v[46:47], v[2:3], -v[0:1]
	v_mul_f64 v[4:5], v[4:5], s[2:3]
	v_mul_f64 v[6:7], v[0:1], s[2:3]
	v_lshl_add_u64 v[0:1], v[8:9], 0, s[4:5]
	global_store_dwordx4 v[0:1], v[4:7], off
	ds_read_b128 v[2:5], v254 offset:4096
	v_accvgpr_read_b32 v8, a24
	v_accvgpr_read_b32 v10, a26
	v_accvgpr_read_b32 v11, a27
	v_accvgpr_read_b32 v9, a25
	s_waitcnt lgkmcnt(0)
	v_mul_f64 v[6:7], v[10:11], v[4:5]
	v_fmac_f64_e32 v[6:7], v[8:9], v[2:3]
	v_mul_f64 v[2:3], v[10:11], v[2:3]
	v_fma_f64 v[2:3], v[8:9], v[4:5], -v[2:3]
	v_mul_f64 v[8:9], v[2:3], s[2:3]
	v_mov_b32_e32 v2, 0xffff7000
	v_mad_u64_u32 v[10:11], s[6:7], s0, v2, v[0:1]
	ds_read_b128 v[0:3], v254 offset:12288
	s_sub_i32 s0, s1, s0
	v_mul_f64 v[6:7], v[6:7], s[2:3]
	v_add_u32_e32 v11, s0, v11
	global_store_dwordx4 v[10:11], v[6:9], off
	s_nop 1
	v_accvgpr_read_b32 v6, a20
	v_accvgpr_read_b32 v8, a22
	;; [unrolled: 1-line block ×4, first 2 shown]
	s_waitcnt lgkmcnt(0)
	v_mul_f64 v[4:5], v[8:9], v[2:3]
	v_fmac_f64_e32 v[4:5], v[6:7], v[0:1]
	v_mul_f64 v[0:1], v[8:9], v[0:1]
	v_fma_f64 v[0:1], v[6:7], v[2:3], -v[0:1]
	v_mul_f64 v[6:7], v[0:1], s[2:3]
	ds_read_b128 v[0:3], v254 offset:20480
	v_lshl_add_u64 v[8:9], v[10:11], 0, s[4:5]
	v_accvgpr_read_b32 v10, a12
	v_mul_f64 v[4:5], v[4:5], s[2:3]
	v_accvgpr_read_b32 v12, a14
	v_accvgpr_read_b32 v13, a15
	global_store_dwordx4 v[8:9], v[4:7], off
	v_accvgpr_read_b32 v11, a13
	v_lshl_add_u64 v[8:9], v[8:9], 0, s[4:5]
	s_waitcnt lgkmcnt(0)
	v_mul_f64 v[4:5], v[12:13], v[2:3]
	v_fmac_f64_e32 v[4:5], v[10:11], v[0:1]
	v_mul_f64 v[0:1], v[12:13], v[0:1]
	v_fma_f64 v[0:1], v[10:11], v[2:3], -v[0:1]
	v_mul_f64 v[6:7], v[0:1], s[2:3]
	ds_read_b128 v[0:3], v254 offset:28672
	v_accvgpr_read_b32 v13, a11
	v_mul_f64 v[4:5], v[4:5], s[2:3]
	v_accvgpr_read_b32 v12, a10
	global_store_dwordx4 v[8:9], v[4:7], off
	v_accvgpr_read_b32 v11, a9
	v_accvgpr_read_b32 v10, a8
	s_waitcnt lgkmcnt(0)
	v_mul_f64 v[4:5], v[12:13], v[2:3]
	v_fmac_f64_e32 v[4:5], v[10:11], v[0:1]
	v_mul_f64 v[0:1], v[12:13], v[0:1]
	v_fma_f64 v[0:1], v[10:11], v[2:3], -v[0:1]
	v_mul_f64 v[6:7], v[0:1], s[2:3]
	ds_read_b128 v[0:3], v254 offset:36864
	v_accvgpr_read_b32 v13, a3
	v_mul_f64 v[4:5], v[4:5], s[2:3]
	v_lshl_add_u64 v[8:9], v[8:9], 0, s[4:5]
	v_accvgpr_read_b32 v12, a2
	global_store_dwordx4 v[8:9], v[4:7], off
	v_accvgpr_read_b32 v11, a1
	v_accvgpr_read_b32 v10, a0
	s_waitcnt lgkmcnt(0)
	v_mul_f64 v[4:5], v[12:13], v[2:3]
	v_fmac_f64_e32 v[4:5], v[10:11], v[0:1]
	v_mul_f64 v[0:1], v[12:13], v[0:1]
	v_fma_f64 v[0:1], v[10:11], v[2:3], -v[0:1]
	v_mul_f64 v[6:7], v[0:1], s[2:3]
	ds_read_b128 v[0:3], v254 offset:45056
	v_accvgpr_read_b32 v10, a16
	v_mul_f64 v[4:5], v[4:5], s[2:3]
	v_lshl_add_u64 v[8:9], v[8:9], 0, s[4:5]
	v_accvgpr_read_b32 v12, a18
	v_accvgpr_read_b32 v13, a19
	global_store_dwordx4 v[8:9], v[4:7], off
	v_accvgpr_read_b32 v11, a17
	s_waitcnt lgkmcnt(0)
	v_mul_f64 v[4:5], v[12:13], v[2:3]
	v_fmac_f64_e32 v[4:5], v[10:11], v[0:1]
	v_mul_f64 v[0:1], v[12:13], v[0:1]
	v_fma_f64 v[0:1], v[10:11], v[2:3], -v[0:1]
	v_mul_f64 v[4:5], v[4:5], s[2:3]
	v_mul_f64 v[6:7], v[0:1], s[2:3]
	v_lshl_add_u64 v[0:1], v[8:9], 0, s[4:5]
	global_store_dwordx4 v[0:1], v[4:7], off
.LBB0_2:
	s_endpgm
	.section	.rodata,"a",@progbits
	.p2align	6, 0x0
	.amdhsa_kernel bluestein_single_fwd_len3072_dim1_dp_op_CI_CI
		.amdhsa_group_segment_fixed_size 49152
		.amdhsa_private_segment_fixed_size 0
		.amdhsa_kernarg_size 104
		.amdhsa_user_sgpr_count 2
		.amdhsa_user_sgpr_dispatch_ptr 0
		.amdhsa_user_sgpr_queue_ptr 0
		.amdhsa_user_sgpr_kernarg_segment_ptr 1
		.amdhsa_user_sgpr_dispatch_id 0
		.amdhsa_user_sgpr_kernarg_preload_length 0
		.amdhsa_user_sgpr_kernarg_preload_offset 0
		.amdhsa_user_sgpr_private_segment_size 0
		.amdhsa_uses_dynamic_stack 0
		.amdhsa_enable_private_segment 0
		.amdhsa_system_sgpr_workgroup_id_x 1
		.amdhsa_system_sgpr_workgroup_id_y 0
		.amdhsa_system_sgpr_workgroup_id_z 0
		.amdhsa_system_sgpr_workgroup_info 0
		.amdhsa_system_vgpr_workitem_id 0
		.amdhsa_next_free_vgpr 306
		.amdhsa_next_free_sgpr 21
		.amdhsa_accum_offset 256
		.amdhsa_reserve_vcc 1
		.amdhsa_float_round_mode_32 0
		.amdhsa_float_round_mode_16_64 0
		.amdhsa_float_denorm_mode_32 3
		.amdhsa_float_denorm_mode_16_64 3
		.amdhsa_dx10_clamp 1
		.amdhsa_ieee_mode 1
		.amdhsa_fp16_overflow 0
		.amdhsa_tg_split 0
		.amdhsa_exception_fp_ieee_invalid_op 0
		.amdhsa_exception_fp_denorm_src 0
		.amdhsa_exception_fp_ieee_div_zero 0
		.amdhsa_exception_fp_ieee_overflow 0
		.amdhsa_exception_fp_ieee_underflow 0
		.amdhsa_exception_fp_ieee_inexact 0
		.amdhsa_exception_int_div_zero 0
	.end_amdhsa_kernel
	.text
.Lfunc_end0:
	.size	bluestein_single_fwd_len3072_dim1_dp_op_CI_CI, .Lfunc_end0-bluestein_single_fwd_len3072_dim1_dp_op_CI_CI
                                        ; -- End function
	.section	.AMDGPU.csdata,"",@progbits
; Kernel info:
; codeLenInByte = 14688
; NumSgprs: 27
; NumVgprs: 256
; NumAgprs: 50
; TotalNumVgprs: 306
; ScratchSize: 0
; MemoryBound: 0
; FloatMode: 240
; IeeeMode: 1
; LDSByteSize: 49152 bytes/workgroup (compile time only)
; SGPRBlocks: 3
; VGPRBlocks: 38
; NumSGPRsForWavesPerEU: 27
; NumVGPRsForWavesPerEU: 306
; AccumOffset: 256
; Occupancy: 1
; WaveLimiterHint : 1
; COMPUTE_PGM_RSRC2:SCRATCH_EN: 0
; COMPUTE_PGM_RSRC2:USER_SGPR: 2
; COMPUTE_PGM_RSRC2:TRAP_HANDLER: 0
; COMPUTE_PGM_RSRC2:TGID_X_EN: 1
; COMPUTE_PGM_RSRC2:TGID_Y_EN: 0
; COMPUTE_PGM_RSRC2:TGID_Z_EN: 0
; COMPUTE_PGM_RSRC2:TIDIG_COMP_CNT: 0
; COMPUTE_PGM_RSRC3_GFX90A:ACCUM_OFFSET: 63
; COMPUTE_PGM_RSRC3_GFX90A:TG_SPLIT: 0
	.text
	.p2alignl 6, 3212836864
	.fill 256, 4, 3212836864
	.type	__hip_cuid_ae5d13cca6a46bbc,@object ; @__hip_cuid_ae5d13cca6a46bbc
	.section	.bss,"aw",@nobits
	.globl	__hip_cuid_ae5d13cca6a46bbc
__hip_cuid_ae5d13cca6a46bbc:
	.byte	0                               ; 0x0
	.size	__hip_cuid_ae5d13cca6a46bbc, 1

	.ident	"AMD clang version 19.0.0git (https://github.com/RadeonOpenCompute/llvm-project roc-6.4.0 25133 c7fe45cf4b819c5991fe208aaa96edf142730f1d)"
	.section	".note.GNU-stack","",@progbits
	.addrsig
	.addrsig_sym __hip_cuid_ae5d13cca6a46bbc
	.amdgpu_metadata
---
amdhsa.kernels:
  - .agpr_count:     50
    .args:
      - .actual_access:  read_only
        .address_space:  global
        .offset:         0
        .size:           8
        .value_kind:     global_buffer
      - .actual_access:  read_only
        .address_space:  global
        .offset:         8
        .size:           8
        .value_kind:     global_buffer
      - .actual_access:  read_only
        .address_space:  global
        .offset:         16
        .size:           8
        .value_kind:     global_buffer
      - .actual_access:  read_only
        .address_space:  global
        .offset:         24
        .size:           8
        .value_kind:     global_buffer
      - .actual_access:  read_only
        .address_space:  global
        .offset:         32
        .size:           8
        .value_kind:     global_buffer
      - .offset:         40
        .size:           8
        .value_kind:     by_value
      - .address_space:  global
        .offset:         48
        .size:           8
        .value_kind:     global_buffer
      - .address_space:  global
        .offset:         56
        .size:           8
        .value_kind:     global_buffer
      - .address_space:  global
        .offset:         64
        .size:           8
        .value_kind:     global_buffer
      - .address_space:  global
        .offset:         72
        .size:           8
        .value_kind:     global_buffer
      - .offset:         80
        .size:           4
        .value_kind:     by_value
      - .address_space:  global
        .offset:         88
        .size:           8
        .value_kind:     global_buffer
      - .address_space:  global
        .offset:         96
        .size:           8
        .value_kind:     global_buffer
    .group_segment_fixed_size: 49152
    .kernarg_segment_align: 8
    .kernarg_segment_size: 104
    .language:       OpenCL C
    .language_version:
      - 2
      - 0
    .max_flat_workgroup_size: 256
    .name:           bluestein_single_fwd_len3072_dim1_dp_op_CI_CI
    .private_segment_fixed_size: 0
    .sgpr_count:     27
    .sgpr_spill_count: 0
    .symbol:         bluestein_single_fwd_len3072_dim1_dp_op_CI_CI.kd
    .uniform_work_group_size: 1
    .uses_dynamic_stack: false
    .vgpr_count:     306
    .vgpr_spill_count: 0
    .wavefront_size: 64
amdhsa.target:   amdgcn-amd-amdhsa--gfx950
amdhsa.version:
  - 1
  - 2
...

	.end_amdgpu_metadata
